;; amdgpu-corpus repo=ROCm/rocFFT kind=compiled arch=gfx1201 opt=O3
	.text
	.amdgcn_target "amdgcn-amd-amdhsa--gfx1201"
	.amdhsa_code_object_version 6
	.protected	bluestein_single_back_len4704_dim1_sp_op_CI_CI ; -- Begin function bluestein_single_back_len4704_dim1_sp_op_CI_CI
	.globl	bluestein_single_back_len4704_dim1_sp_op_CI_CI
	.p2align	8
	.type	bluestein_single_back_len4704_dim1_sp_op_CI_CI,@function
bluestein_single_back_len4704_dim1_sp_op_CI_CI: ; @bluestein_single_back_len4704_dim1_sp_op_CI_CI
; %bb.0:
	s_load_b128 s[8:11], s[0:1], 0x28
	v_mul_u32_u24_e32 v1, 0x125, v0
	s_mov_b32 s2, exec_lo
	v_mov_b32_e32 v113, 0
	s_delay_alu instid0(VALU_DEP_2) | instskip(NEXT) | instid1(VALU_DEP_1)
	v_lshrrev_b32_e32 v1, 16, v1
	v_add_nc_u32_e32 v112, ttmp9, v1
	s_wait_kmcnt 0x0
	s_delay_alu instid0(VALU_DEP_1)
	v_cmpx_gt_u64_e64 s[8:9], v[112:113]
	s_cbranch_execz .LBB0_23
; %bb.1:
	s_clause 0x1
	s_load_b128 s[4:7], s[0:1], 0x18
	s_load_b64 s[16:17], s[0:1], 0x0
	v_mul_lo_u16 v1, 0xe0, v1
	s_movk_i32 s2, 0xf0cc
	s_mov_b32 s3, -1
	s_delay_alu instid0(VALU_DEP_1) | instskip(NEXT) | instid1(VALU_DEP_1)
	v_sub_nc_u16 v38, v0, v1
	v_and_b32_e32 v154, 0xffff, v38
	s_wait_kmcnt 0x0
	s_load_b128 s[12:15], s[4:5], 0x0
	s_wait_kmcnt 0x0
	v_mad_co_u64_u32 v[0:1], null, s14, v112, 0
	v_mad_co_u64_u32 v[2:3], null, s12, v154, 0
	s_mul_u64 s[4:5], s[12:13], 0x24c
	s_mul_u64 s[2:3], s[12:13], s[2:3]
	s_delay_alu instid0(SALU_CYCLE_1) | instskip(NEXT) | instid1(VALU_DEP_1)
	s_lshl_b64 s[2:3], s[2:3], 3
	v_mad_co_u64_u32 v[4:5], null, s15, v112, v[1:2]
	s_delay_alu instid0(VALU_DEP_1) | instskip(NEXT) | instid1(VALU_DEP_3)
	v_mov_b32_e32 v1, v4
	v_mad_co_u64_u32 v[5:6], null, s13, v154, v[3:4]
	v_lshlrev_b32_e32 v153, 3, v154
	s_clause 0x2
	global_load_b64 v[141:142], v153, s[16:17]
	global_load_b64 v[133:134], v153, s[16:17] offset:9408
	global_load_b64 v[131:132], v153, s[16:17] offset:18816
	v_mov_b32_e32 v3, v5
	v_lshlrev_b64_e32 v[0:1], 3, v[0:1]
	s_clause 0x7
	global_load_b64 v[121:122], v153, s[16:17] offset:28224
	global_load_b64 v[119:120], v153, s[16:17] offset:32928
	;; [unrolled: 1-line block ×8, first 2 shown]
	v_lshlrev_b64_e32 v[2:3], 3, v[2:3]
	s_clause 0x1
	global_load_b64 v[135:136], v153, s[16:17] offset:23520
	global_load_b64 v[110:111], v153, s[16:17] offset:25312
	v_add_co_u32 v0, vcc_lo, s10, v0
	v_add_co_ci_u32_e32 v1, vcc_lo, s11, v1, vcc_lo
	s_lshl_b64 s[10:11], s[4:5], 3
	s_delay_alu instid0(VALU_DEP_2) | instskip(SKIP_1) | instid1(VALU_DEP_2)
	v_add_co_u32 v0, vcc_lo, v0, v2
	s_wait_alu 0xfffd
	v_add_co_ci_u32_e32 v1, vcc_lo, v1, v3, vcc_lo
	s_wait_alu 0xfffe
	s_delay_alu instid0(VALU_DEP_2)
	v_add_co_u32 v2, vcc_lo, v0, s10
	global_load_b64 v[6:7], v[0:1], off
	s_wait_alu 0xfffd
	v_add_co_ci_u32_e32 v3, vcc_lo, s11, v1, vcc_lo
	v_add_co_u32 v4, vcc_lo, v2, s10
	s_wait_alu 0xfffd
	s_delay_alu instid0(VALU_DEP_2)
	v_add_co_ci_u32_e32 v5, vcc_lo, s11, v3, vcc_lo
	global_load_b64 v[2:3], v[2:3], off
	v_add_co_u32 v0, vcc_lo, v4, s10
	s_wait_alu 0xfffd
	v_add_co_ci_u32_e32 v1, vcc_lo, s11, v5, vcc_lo
	s_clause 0x1
	global_load_b64 v[4:5], v[4:5], off
	global_load_b64 v[10:11], v[0:1], off
	v_add_co_u32 v8, vcc_lo, v0, s10
	s_wait_alu 0xfffd
	v_add_co_ci_u32_e32 v9, vcc_lo, s11, v1, vcc_lo
	s_delay_alu instid0(VALU_DEP_2) | instskip(SKIP_1) | instid1(VALU_DEP_2)
	v_add_co_u32 v0, vcc_lo, v8, s10
	s_wait_alu 0xfffd
	v_add_co_ci_u32_e32 v1, vcc_lo, s11, v9, vcc_lo
	global_load_b64 v[8:9], v[8:9], off
	v_add_co_u32 v12, vcc_lo, v0, s10
	s_wait_alu 0xfffd
	v_add_co_ci_u32_e32 v13, vcc_lo, s11, v1, vcc_lo
	global_load_b64 v[14:15], v[0:1], off
	;; [unrolled: 4-line block ×8, first 2 shown]
	v_add_co_u32 v26, vcc_lo, v0, s10
	s_wait_alu 0xfffd
	v_add_co_ci_u32_e32 v27, vcc_lo, s11, v1, vcc_lo
	s_delay_alu instid0(VALU_DEP_2) | instskip(SKIP_1) | instid1(VALU_DEP_2)
	v_add_co_u32 v28, vcc_lo, v26, s10
	s_wait_alu 0xfffd
	v_add_co_ci_u32_e32 v29, vcc_lo, s11, v27, vcc_lo
	s_wait_loadcnt 0xb
	v_mul_f32_e32 v34, v7, v142
	v_mul_f32_e32 v35, v6, v142
	s_delay_alu instid0(VALU_DEP_2)
	v_fmac_f32_e32 v34, v6, v141
	global_load_b64 v[129:130], v153, s[16:17] offset:20608
	global_load_b64 v[30:31], v[0:1], off
	s_clause 0x1
	global_load_b64 v[125:126], v153, s[16:17] offset:34720
	global_load_b64 v[127:128], v153, s[16:17] offset:30016
	global_load_b64 v[26:27], v[26:27], off
	global_load_b64 v[32:33], v[28:29], off
	v_add_co_u32 v0, vcc_lo, v28, s10
	s_wait_alu 0xfffd
	v_add_co_ci_u32_e32 v1, vcc_lo, s11, v29, vcc_lo
	s_wait_loadcnt 0x10
	v_mul_f32_e32 v36, v3, v138
	v_mul_f32_e32 v37, v2, v138
	v_add_co_u32 v108, s12, s16, v153
	global_load_b64 v[28:29], v[0:1], off
	s_wait_loadcnt 0xf
	v_mul_f32_e32 v6, v11, v140
	v_fma_f32 v35, v7, v141, -v35
	v_mul_f32_e32 v7, v10, v140
	v_fmac_f32_e32 v36, v2, v137
	v_mul_f32_e32 v2, v5, v134
	v_fmac_f32_e32 v6, v10, v139
	s_load_b64 s[8:9], s[0:1], 0x38
	s_load_b128 s[4:7], s[6:7], 0x0
	v_fma_f32 v7, v11, v139, -v7
	v_add_co_ci_u32_e64 v109, null, s17, 0, s12
	v_fmac_f32_e32 v2, v4, v133
	v_fma_f32 v37, v3, v137, -v37
	s_wait_loadcnt 0xe
	v_dual_mul_f32 v3, v4, v134 :: v_dual_mul_f32 v4, v9, v132
	s_wait_loadcnt 0xd
	v_mul_f32_e32 v11, v14, v136
	v_cmp_gt_u16_e32 vcc_lo, 0x8c, v38
	s_delay_alu instid0(VALU_DEP_3)
	v_fma_f32 v3, v5, v133, -v3
	s_wait_loadcnt 0xc
	v_mul_f32_e32 v39, v12, v122
	v_mul_f32_e32 v5, v8, v132
	v_fmac_f32_e32 v4, v8, v131
	v_mul_f32_e32 v10, v13, v122
	v_mul_f32_e32 v8, v15, v136
	ds_store_b64 v153, v[2:3] offset:9408
	ds_store_b64 v153, v[6:7] offset:14112
	v_fma_f32 v5, v9, v131, -v5
	v_fma_f32 v9, v15, v135, -v11
	;; [unrolled: 1-line block ×3, first 2 shown]
	s_wait_loadcnt 0xa
	v_dual_mul_f32 v13, v18, v120 :: v_dual_mul_f32 v2, v17, v118
	v_mul_f32_e32 v3, v16, v118
	v_fmac_f32_e32 v10, v12, v121
	v_mul_f32_e32 v12, v19, v120
	s_delay_alu instid0(VALU_DEP_4)
	v_fma_f32 v13, v19, v119, -v13
	v_fmac_f32_e32 v2, v16, v117
	v_fma_f32 v3, v17, v117, -v3
	s_wait_loadcnt 0x7
	v_mul_f32_e32 v7, v22, v114
	v_fmac_f32_e32 v8, v14, v135
	ds_store_b64 v153, v[4:5] offset:18816
	ds_store_b64 v153, v[8:9] offset:23520
	;; [unrolled: 1-line block ×3, first 2 shown]
	v_dual_mul_f32 v5, v24, v116 :: v_dual_mul_f32 v6, v23, v114
	v_mul_f32_e32 v4, v25, v116
	v_fma_f32 v7, v23, v113, -v7
	s_delay_alu instid0(VALU_DEP_3) | instskip(NEXT) | instid1(VALU_DEP_4)
	v_fma_f32 v5, v25, v115, -v5
	v_fmac_f32_e32 v6, v22, v113
	s_wait_loadcnt 0x2
	v_mul_f32_e32 v11, v26, v111
	v_fmac_f32_e32 v12, v18, v119
	ds_store_b64 v153, v[36:37] offset:4704
	ds_store_b64 v153, v[12:13] offset:32928
	s_wait_loadcnt 0x1
	v_mul_f32_e32 v13, v32, v128
	ds_store_2addr_b64 v153, v[34:35], v[2:3] offset1:224
	v_mul_f32_e32 v2, v21, v124
	v_dual_mul_f32 v3, v20, v124 :: v_dual_mul_f32 v8, v31, v130
	v_dual_mul_f32 v9, v30, v130 :: v_dual_mul_f32 v10, v27, v111
	v_mul_f32_e32 v12, v33, v128
	s_wait_loadcnt 0x0
	v_mul_f32_e32 v14, v29, v126
	v_mul_f32_e32 v15, v28, v126
	v_fmac_f32_e32 v2, v20, v123
	v_fma_f32 v3, v21, v123, -v3
	v_fmac_f32_e32 v8, v30, v129
	v_fma_f32 v9, v31, v129, -v9
	;; [unrolled: 2-line block ×4, first 2 shown]
	v_fmac_f32_e32 v4, v24, v115
	v_fmac_f32_e32 v14, v28, v125
	v_fma_f32 v15, v29, v125, -v15
	ds_store_b64 v153, v[2:3] offset:11200
	ds_store_b64 v153, v[6:7] offset:15904
	;; [unrolled: 1-line block ×7, first 2 shown]
	s_and_saveexec_b32 s12, vcc_lo
	s_cbranch_execz .LBB0_3
; %bb.2:
	v_add_co_u32 v0, s2, v0, s2
	s_wait_alu 0xf1ff
	v_add_co_ci_u32_e64 v1, s2, s3, v1, s2
	s_delay_alu instid0(VALU_DEP_2) | instskip(SKIP_1) | instid1(VALU_DEP_2)
	v_add_co_u32 v2, s2, v0, s10
	s_wait_alu 0xf1ff
	v_add_co_ci_u32_e64 v3, s2, s11, v1, s2
	global_load_b64 v[0:1], v[0:1], off
	global_load_b64 v[4:5], v[2:3], off
	v_add_co_u32 v2, s2, v2, s10
	s_wait_alu 0xf1ff
	v_add_co_ci_u32_e64 v3, s2, s11, v3, s2
	s_clause 0x1
	global_load_b64 v[6:7], v[108:109], off offset:3584
	global_load_b64 v[8:9], v[108:109], off offset:8288
	v_add_co_u32 v10, s2, v2, s10
	s_wait_alu 0xf1ff
	v_add_co_ci_u32_e64 v11, s2, s11, v3, s2
	global_load_b64 v[2:3], v[2:3], off
	v_add_co_u32 v12, s2, v10, s10
	s_wait_alu 0xf1ff
	v_add_co_ci_u32_e64 v13, s2, s11, v11, s2
	global_load_b64 v[10:11], v[10:11], off
	v_add_co_u32 v14, s2, v12, s10
	s_wait_alu 0xf1ff
	v_add_co_ci_u32_e64 v15, s2, s11, v13, s2
	s_clause 0x1
	global_load_b64 v[16:17], v[108:109], off offset:12992
	global_load_b64 v[18:19], v[108:109], off offset:17696
	v_add_co_u32 v20, s2, v14, s10
	s_wait_alu 0xf1ff
	v_add_co_ci_u32_e64 v21, s2, s11, v15, s2
	global_load_b64 v[12:13], v[12:13], off
	global_load_b64 v[22:23], v[108:109], off offset:22400
	global_load_b64 v[14:15], v[14:15], off
	global_load_b64 v[24:25], v[20:21], off
	s_clause 0x1
	global_load_b64 v[26:27], v[108:109], off offset:27104
	global_load_b64 v[28:29], v[108:109], off offset:31808
	v_add_co_u32 v20, s2, v20, s10
	s_wait_alu 0xf1ff
	v_add_co_ci_u32_e64 v21, s2, s11, v21, s2
	global_load_b64 v[30:31], v[108:109], off offset:36512
	global_load_b64 v[20:21], v[20:21], off
	s_wait_loadcnt 0xd
	v_mul_f32_e32 v32, v1, v7
	v_mul_f32_e32 v33, v0, v7
	s_wait_loadcnt 0xc
	v_mul_f32_e32 v7, v5, v9
	v_mul_f32_e32 v9, v4, v9
	v_fmac_f32_e32 v32, v0, v6
	s_delay_alu instid0(VALU_DEP_3) | instskip(NEXT) | instid1(VALU_DEP_3)
	v_fmac_f32_e32 v7, v4, v8
	v_fma_f32 v8, v5, v8, -v9
	s_wait_loadcnt 0x9
	v_mul_f32_e32 v0, v3, v17
	s_wait_loadcnt 0x8
	v_mul_f32_e32 v4, v11, v19
	v_fma_f32 v33, v1, v6, -v33
	v_mul_f32_e32 v1, v2, v17
	v_fmac_f32_e32 v0, v2, v16
	s_wait_loadcnt 0x6
	v_mul_f32_e32 v2, v13, v23
	v_mul_f32_e32 v5, v10, v19
	s_wait_loadcnt 0x3
	v_dual_fmac_f32 v4, v10, v18 :: v_dual_mul_f32 v9, v15, v27
	v_fma_f32 v1, v3, v16, -v1
	v_mul_f32_e32 v3, v12, v23
	v_fmac_f32_e32 v2, v12, v22
	v_fma_f32 v5, v11, v18, -v5
	s_wait_loadcnt 0x2
	v_dual_mul_f32 v6, v14, v27 :: v_dual_mul_f32 v11, v25, v29
	v_dual_fmac_f32 v9, v14, v26 :: v_dual_mul_f32 v12, v24, v29
	v_fma_f32 v3, v13, v22, -v3
	s_delay_alu instid0(VALU_DEP_3)
	v_fma_f32 v10, v15, v26, -v6
	s_wait_loadcnt 0x0
	v_dual_fmac_f32 v11, v24, v28 :: v_dual_mul_f32 v6, v21, v31
	v_mul_f32_e32 v13, v20, v31
	v_fma_f32 v12, v25, v28, -v12
	ds_store_b64 v153, v[7:8] offset:8288
	ds_store_b64 v153, v[0:1] offset:12992
	v_fmac_f32_e32 v6, v20, v30
	v_fma_f32 v7, v21, v30, -v13
	ds_store_b64 v153, v[4:5] offset:17696
	ds_store_b64 v153, v[2:3] offset:22400
	;; [unrolled: 1-line block ×6, first 2 shown]
.LBB0_3:
	s_wait_alu 0xfffe
	s_or_b32 exec_lo, exec_lo, s12
	v_add_nc_u32_e32 v12, 0x3700, v153
	v_add_nc_u32_e32 v0, 0x1200, v153
	;; [unrolled: 1-line block ×7, first 2 shown]
	global_wb scope:SCOPE_SE
	s_wait_dscnt 0x0
	s_wait_kmcnt 0x0
	s_barrier_signal -1
	s_barrier_wait -1
	global_inv scope:SCOPE_SE
	ds_load_2addr_b64 v[8:11], v153 offset1:224
	ds_load_2addr_b64 v[0:3], v0 offset0:12 offset1:236
	ds_load_2addr_b64 v[4:7], v4 offset0:24 offset1:248
	ds_load_2addr_b64 v[12:15], v12 offset0:4 offset1:228
	ds_load_2addr_b64 v[28:31], v16 offset0:16 offset1:240
	ds_load_2addr_b64 v[20:23], v17 offset0:28 offset1:252
	ds_load_2addr_b64 v[24:27], v18 offset0:8 offset1:232
	ds_load_2addr_b64 v[16:19], v19 offset0:20 offset1:244
                                        ; implicit-def: $vgpr38
                                        ; implicit-def: $vgpr42
                                        ; implicit-def: $vgpr40
                                        ; implicit-def: $vgpr44
                                        ; implicit-def: $vgpr32
                                        ; implicit-def: $vgpr36
                                        ; implicit-def: $vgpr34
                                        ; implicit-def: $vgpr46
	s_and_saveexec_b32 s2, vcc_lo
	s_cbranch_execz .LBB0_5
; %bb.4:
	ds_load_b64 v[34:35], v153 offset:8288
	ds_load_b64 v[36:37], v153 offset:12992
	;; [unrolled: 1-line block ×8, first 2 shown]
.LBB0_5:
	s_wait_alu 0xfffe
	s_or_b32 exec_lo, exec_lo, s2
	s_wait_dscnt 0x3
	v_dual_sub_f32 v28, v8, v28 :: v_dual_sub_f32 v29, v9, v29
	s_wait_dscnt 0x1
	v_dual_sub_f32 v24, v4, v24 :: v_dual_sub_f32 v25, v5, v25
	v_dual_sub_f32 v20, v0, v20 :: v_dual_sub_f32 v21, v1, v21
	s_wait_dscnt 0x0
	v_dual_sub_f32 v16, v12, v16 :: v_dual_sub_f32 v17, v13, v17
	s_delay_alu instid0(VALU_DEP_3)
	v_fma_f32 v5, v5, 2.0, -v25
	v_sub_f32_e32 v25, v28, v25
	v_fma_f32 v8, v8, 2.0, -v28
	v_fma_f32 v9, v9, 2.0, -v29
	;; [unrolled: 1-line block ×3, first 2 shown]
	v_add_f32_e32 v24, v29, v24
	v_fma_f32 v0, v0, 2.0, -v20
	v_fma_f32 v1, v1, 2.0, -v21
	;; [unrolled: 1-line block ×4, first 2 shown]
	v_sub_f32_e32 v62, v20, v17
	v_fma_f32 v17, v28, 2.0, -v25
	v_add_f32_e32 v28, v21, v16
	v_dual_sub_f32 v4, v8, v4 :: v_dual_sub_f32 v5, v9, v5
	v_dual_sub_f32 v12, v0, v12 :: v_dual_sub_f32 v13, v1, v13
	v_fma_f32 v16, v20, 2.0, -v62
	v_fma_f32 v20, v29, 2.0, -v24
	;; [unrolled: 1-line block ×7, first 2 shown]
	v_dual_fmamk_f32 v50, v16, 0xbf3504f3, v17 :: v_dual_fmamk_f32 v51, v21, 0xbf3504f3, v20
	v_sub_f32_e32 v58, v4, v13
	s_delay_alu instid0(VALU_DEP_3) | instskip(NEXT) | instid1(VALU_DEP_3)
	v_dual_sub_f32 v48, v8, v0 :: v_dual_sub_f32 v49, v9, v1
	v_dual_sub_f32 v1, v11, v31 :: v_dual_fmac_f32 v50, 0xbf3504f3, v21
	v_add_f32_e32 v59, v5, v12
	v_dual_fmac_f32 v51, 0x3f3504f3, v16 :: v_dual_sub_f32 v0, v10, v30
	v_dual_fmamk_f32 v60, v62, 0x3f3504f3, v25 :: v_dual_fmamk_f32 v61, v28, 0x3f3504f3, v24
	s_delay_alu instid0(VALU_DEP_4)
	v_fma_f32 v56, v17, 2.0, -v50
	v_fma_f32 v16, v4, 2.0, -v58
	;; [unrolled: 1-line block ×3, first 2 shown]
	v_dual_sub_f32 v4, v6, v26 :: v_dual_sub_f32 v13, v15, v19
	v_fma_f32 v5, v10, 2.0, -v0
	v_fma_f32 v10, v11, 2.0, -v1
	v_sub_f32_e32 v11, v3, v23
	v_fma_f32 v55, v9, 2.0, -v49
	v_fmac_f32_e32 v61, 0x3f3504f3, v62
	v_dual_fmac_f32 v60, 0xbf3504f3, v28 :: v_dual_sub_f32 v9, v2, v22
	s_delay_alu instid0(VALU_DEP_4) | instskip(SKIP_4) | instid1(VALU_DEP_4)
	v_fma_f32 v3, v3, 2.0, -v11
	v_fma_f32 v15, v15, 2.0, -v13
	v_sub_f32_e32 v12, v14, v18
	v_fma_f32 v54, v8, 2.0, -v48
	v_dual_sub_f32 v8, v7, v27 :: v_dual_sub_f32 v13, v9, v13
	v_sub_f32_e32 v15, v3, v15
	s_delay_alu instid0(VALU_DEP_4)
	v_fma_f32 v14, v14, 2.0, -v12
	v_add_f32_e32 v12, v11, v12
	v_fma_f32 v6, v6, 2.0, -v4
	v_fma_f32 v7, v7, 2.0, -v8
	;; [unrolled: 1-line block ×5, first 2 shown]
	v_add_f32_e32 v4, v1, v4
	v_dual_sub_f32 v6, v5, v6 :: v_dual_sub_f32 v7, v10, v7
	v_fma_f32 v3, v3, 2.0, -v15
	v_fma_f32 v57, v20, 2.0, -v51
	s_delay_alu instid0(VALU_DEP_4) | instskip(NEXT) | instid1(VALU_DEP_4)
	v_fma_f32 v1, v1, 2.0, -v4
	v_fma_f32 v5, v5, 2.0, -v6
	;; [unrolled: 1-line block ×3, first 2 shown]
	v_sub_f32_e32 v8, v0, v8
	v_dual_sub_f32 v28, v6, v15 :: v_dual_sub_f32 v15, v32, v38
	v_dual_fmamk_f32 v23, v11, 0xbf3504f3, v1 :: v_dual_sub_f32 v14, v2, v14
	s_delay_alu instid0(VALU_DEP_4) | instskip(NEXT) | instid1(VALU_DEP_4)
	v_sub_f32_e32 v21, v10, v3
	v_fma_f32 v0, v0, 2.0, -v8
	s_delay_alu instid0(VALU_DEP_3) | instskip(NEXT) | instid1(VALU_DEP_4)
	v_dual_fmamk_f32 v30, v13, 0x3f3504f3, v8 :: v_dual_fmac_f32 v23, 0x3f3504f3, v9
	v_fma_f32 v2, v2, 2.0, -v14
	s_delay_alu instid0(VALU_DEP_3) | instskip(SKIP_2) | instid1(VALU_DEP_4)
	v_dual_add_f32 v29, v7, v14 :: v_dual_fmamk_f32 v22, v9, 0xbf3504f3, v0
	v_fmamk_f32 v31, v12, 0x3f3504f3, v4
	v_sub_f32_e32 v3, v37, v43
	v_sub_f32_e32 v20, v5, v2
	s_delay_alu instid0(VALU_DEP_4)
	v_fma_f32 v63, v7, 2.0, -v29
	v_sub_f32_e32 v7, v36, v42
	v_fmac_f32_e32 v31, 0x3f3504f3, v13
	v_fmac_f32_e32 v30, 0xbf3504f3, v12
	v_fma_f32 v18, v25, 2.0, -v60
	v_fmac_f32_e32 v22, 0xbf3504f3, v11
	v_fma_f32 v25, v10, 2.0, -v21
	v_fma_f32 v27, v1, 2.0, -v23
	;; [unrolled: 1-line block ×4, first 2 shown]
	v_sub_f32_e32 v10, v35, v41
	v_fma_f32 v1, v37, 2.0, -v3
	v_sub_f32_e32 v8, v34, v40
	v_sub_f32_e32 v14, v33, v39
	;; [unrolled: 1-line block ×3, first 2 shown]
	v_fma_f32 v19, v24, 2.0, -v61
	v_fma_f32 v24, v5, 2.0, -v20
	v_sub_f32_e32 v5, v46, v44
	v_fma_f32 v26, v0, 2.0, -v22
	v_fma_f32 v0, v36, 2.0, -v7
	;; [unrolled: 1-line block ×4, first 2 shown]
	v_sub_f32_e32 v35, v8, v14
	v_fma_f32 v9, v47, 2.0, -v6
	v_add_f32_e32 v13, v7, v6
	v_add_f32_e32 v36, v15, v10
	v_fma_f32 v32, v32, 2.0, -v15
	v_fma_f32 v33, v33, 2.0, -v14
	v_sub_f32_e32 v1, v9, v1
	v_fma_f32 v15, v6, 2.0, -v13
	v_fma_f32 v10, v10, 2.0, -v36
	;; [unrolled: 1-line block ×3, first 2 shown]
	v_sub_f32_e32 v12, v5, v3
	v_fma_f32 v3, v9, 2.0, -v1
	v_sub_f32_e32 v9, v11, v32
	v_fmamk_f32 v7, v10, 0xbf3504f3, v15
	v_sub_f32_e32 v32, v34, v33
	v_fma_f32 v14, v5, 2.0, -v12
	v_fma_f32 v8, v8, 2.0, -v35
	;; [unrolled: 1-line block ×3, first 2 shown]
	v_lshlrev_b16 v33, 3, v154
	v_fma_f32 v11, v34, 2.0, -v32
	v_sub_f32_e32 v0, v2, v0
	v_dual_fmamk_f32 v6, v8, 0xbf3504f3, v14 :: v_dual_add_f32 v9, v9, v1
	v_add_co_u32 v53, null, 0xe0, v154
	s_delay_alu instid0(VALU_DEP_3) | instskip(SKIP_2) | instid1(VALU_DEP_4)
	v_fma_f32 v2, v2, 2.0, -v0
	v_add_co_u32 v52, null, 0x1c0, v154
	v_fma_f32 v65, v4, 2.0, -v31
	v_dual_fmac_f32 v6, 0xbf3504f3, v10 :: v_dual_lshlrev_b32 v159, 6, v53
	s_delay_alu instid0(VALU_DEP_4)
	v_dual_sub_f32 v4, v2, v5 :: v_dual_sub_f32 v5, v3, v11
	v_dual_fmac_f32 v7, 0x3f3504f3, v8 :: v_dual_fmamk_f32 v10, v35, 0x3f3504f3, v12
	v_lshlrev_b32_e32 v157, 6, v52
	v_fmamk_f32 v11, v36, 0x3f3504f3, v13
	v_sub_f32_e32 v8, v0, v32
	v_and_b32_e32 v32, 0xffff, v33
	v_fmac_f32_e32 v10, 0xbf3504f3, v36
	global_wb scope:SCOPE_SE
	v_fmac_f32_e32 v11, 0x3f3504f3, v35
	s_barrier_signal -1
	v_lshlrev_b32_e32 v158, 3, v32
	s_barrier_wait -1
	global_inv scope:SCOPE_SE
	ds_store_b128 v158, v[54:57]
	ds_store_b128 v158, v[16:19] offset:16
	ds_store_b128 v158, v[48:51] offset:32
	;; [unrolled: 1-line block ×3, first 2 shown]
	ds_store_b128 v159, v[24:27]
	ds_store_b128 v159, v[62:65] offset:16
	ds_store_b128 v159, v[20:23] offset:32
	;; [unrolled: 1-line block ×3, first 2 shown]
	s_and_saveexec_b32 s2, vcc_lo
	s_cbranch_execz .LBB0_7
; %bb.6:
	v_fma_f32 v22, v15, 2.0, -v7
	v_fma_f32 v21, v14, 2.0, -v6
	;; [unrolled: 1-line block ×8, first 2 shown]
	ds_store_b128 v157, v[19:22]
	ds_store_b128 v157, v[15:18] offset:16
	ds_store_b128 v157, v[4:7] offset:32
	;; [unrolled: 1-line block ×3, first 2 shown]
.LBB0_7:
	s_wait_alu 0xfffe
	s_or_b32 exec_lo, exec_lo, s2
	v_add_nc_u32_e32 v0, 0x2400, v153
	v_add_nc_u32_e32 v1, 0x4900, v153
	global_wb scope:SCOPE_SE
	s_wait_dscnt 0x0
	s_barrier_signal -1
	s_barrier_wait -1
	global_inv scope:SCOPE_SE
	ds_load_2addr_b64 v[12:15], v153 offset1:224
	ds_load_2addr_b64 v[24:27], v0 offset0:24 offset1:248
	ds_load_2addr_b64 v[20:23], v1 offset0:16 offset1:240
	v_add_nc_u32_e32 v0, 0x6e00, v153
	v_add_nc_u32_e32 v1, 0xe00, v153
	;; [unrolled: 1-line block ×5, first 2 shown]
	ds_load_2addr_b64 v[40:43], v0 offset0:8 offset1:232
	ds_load_2addr_b64 v[16:19], v1 offset1:224
	ds_load_2addr_b64 v[36:39], v2 offset0:24 offset1:248
	ds_load_2addr_b64 v[32:35], v3 offset0:16 offset1:240
	;; [unrolled: 1-line block ×3, first 2 shown]
	ds_load_b64 v[50:51], v153 offset:16576
	ds_load_b64 v[46:47], v153 offset:25984
	;; [unrolled: 1-line block ×4, first 2 shown]
	s_load_b64 s[2:3], s[0:1], 0x8
	v_cmp_gt_u16_e64 s0, 56, v154
	s_delay_alu instid0(VALU_DEP_1)
	s_and_saveexec_b32 s1, s0
	s_cbranch_execz .LBB0_9
; %bb.8:
	ds_load_b64 v[6:7], v153 offset:18368
	ds_load_b64 v[8:9], v153 offset:27776
	;; [unrolled: 1-line block ×4, first 2 shown]
.LBB0_9:
	s_wait_alu 0xfffe
	s_or_b32 exec_lo, exec_lo, s1
	v_and_b32_e32 v155, 7, v154
	v_add_co_u32 v68, null, 0x460, v154
	s_wait_kmcnt 0x0
	s_delay_alu instid0(VALU_DEP_2)
	v_mad_co_u64_u32 v[54:55], null, v155, 24, s[2:3]
	s_clause 0x1
	global_load_b128 v[0:3], v[54:55], off
	global_load_b64 v[143:144], v[54:55], off offset:16
	v_add_co_u32 v55, null, 0x2a0, v154
	v_lshlrev_b32_e32 v56, 2, v154
	v_lshlrev_b32_e32 v58, 2, v52
	v_add_co_u32 v54, null, 0x380, v154
	s_delay_alu instid0(VALU_DEP_4) | instskip(NEXT) | instid1(VALU_DEP_4)
	v_lshlrev_b32_e32 v59, 2, v55
	v_and_or_b32 v56, 0x3e0, v56, v155
	v_lshlrev_b32_e32 v57, 2, v53
	s_delay_alu instid0(VALU_DEP_4)
	v_lshlrev_b32_e32 v60, 2, v54
	v_lshlrev_b32_e32 v156, 2, v68
	global_wb scope:SCOPE_SE
	s_wait_loadcnt_dscnt 0x0
	v_lshlrev_b32_e32 v164, 3, v56
	v_and_or_b32 v56, 0xfe0, v59, v155
	s_barrier_signal -1
	s_barrier_wait -1
	global_inv scope:SCOPE_SE
	v_dual_mul_f32 v62, v27, v1 :: v_dual_lshlrev_b32 v161, 3, v56
	v_dual_mul_f32 v56, v25, v1 :: v_dual_mul_f32 v59, v20, v3
	v_and_or_b32 v58, 0xfe0, v58, v155
	v_mul_f32_e32 v61, v40, v144
	v_mul_f32_e32 v63, v26, v1
	;; [unrolled: 1-line block ×3, first 2 shown]
	s_delay_alu instid0(VALU_DEP_4)
	v_dual_mul_f32 v67, v42, v144 :: v_dual_lshlrev_b32 v162, 3, v58
	v_mul_f32_e32 v58, v21, v3
	v_and_or_b32 v57, 0x7e0, v57, v155
	v_mul_f32_e32 v64, v23, v3
	v_dual_mul_f32 v66, v43, v144 :: v_dual_mul_f32 v69, v37, v1
	v_dual_mul_f32 v70, v36, v1 :: v_dual_mul_f32 v73, v29, v144
	s_delay_alu instid0(VALU_DEP_4) | instskip(SKIP_4) | instid1(VALU_DEP_4)
	v_lshlrev_b32_e32 v163, 3, v57
	v_and_or_b32 v57, 0x1fe0, v60, v155
	v_mul_f32_e32 v60, v41, v144
	v_mul_f32_e32 v71, v33, v3
	v_dual_mul_f32 v72, v32, v3 :: v_dual_mul_f32 v75, v39, v1
	v_lshlrev_b32_e32 v160, 3, v57
	v_mul_f32_e32 v57, v24, v1
	v_mul_f32_e32 v90, v8, v3
	v_dual_mul_f32 v74, v28, v144 :: v_dual_mul_f32 v77, v35, v3
	v_dual_mul_f32 v76, v38, v1 :: v_dual_mul_f32 v79, v31, v144
	;; [unrolled: 1-line block ×7, first 2 shown]
	v_dual_mul_f32 v92, v10, v144 :: v_dual_fmac_f32 v59, v21, v2
	v_fmac_f32_e32 v57, v25, v0
	v_fma_f32 v20, v20, v2, -v58
	v_dual_fmac_f32 v61, v41, v143 :: v_dual_fmac_f32 v76, v39, v0
	v_dual_fmac_f32 v63, v27, v0 :: v_dual_fmac_f32 v72, v33, v2
	;; [unrolled: 1-line block ×4, first 2 shown]
	v_dual_mul_f32 v86, v48, v144 :: v_dual_mul_f32 v89, v9, v3
	v_fma_f32 v24, v24, v0, -v56
	v_fma_f32 v21, v40, v143, -v60
	;; [unrolled: 1-line block ×7, first 2 shown]
	v_dual_fmac_f32 v74, v29, v143 :: v_dual_sub_f32 v37, v15, v65
	v_fma_f32 v29, v38, v0, -v75
	v_fma_f32 v32, v34, v2, -v77
	v_dual_fmac_f32 v78, v35, v2 :: v_dual_sub_f32 v9, v57, v61
	v_fma_f32 v30, v30, v143, -v79
	v_fmac_f32_e32 v80, v31, v143
	v_fma_f32 v31, v50, v0, -v81
	v_fma_f32 v33, v46, v2, -v83
	;; [unrolled: 1-line block ×4, first 2 shown]
	v_dual_fmac_f32 v88, v7, v0 :: v_dual_sub_f32 v43, v5, v90
	v_fma_f32 v7, v10, v143, -v91
	v_fmac_f32_e32 v92, v11, v143
	v_fmac_f32_e32 v84, v47, v2
	v_dual_sub_f32 v20, v12, v20 :: v_dual_sub_f32 v11, v63, v67
	v_dual_sub_f32 v36, v13, v59 :: v_dual_sub_f32 v39, v19, v78
	v_fma_f32 v23, v42, v143, -v66
	v_fmac_f32_e32 v86, v49, v143
	v_fma_f32 v6, v8, v2, -v89
	v_dual_sub_f32 v8, v24, v21 :: v_dual_sub_f32 v21, v26, v28
	v_sub_f32_e32 v47, v88, v92
	v_sub_f32_e32 v41, v45, v84
	v_fma_f32 v49, v13, 2.0, -v36
	v_fma_f32 v50, v57, 2.0, -v9
	v_sub_f32_e32 v46, v35, v7
	v_sub_f32_e32 v38, v17, v72
	v_fma_f32 v56, v15, 2.0, -v37
	v_fma_f32 v57, v63, 2.0, -v11
	v_sub_f32_e32 v28, v29, v30
	v_dual_sub_f32 v40, v44, v33 :: v_dual_sub_f32 v33, v31, v34
	v_dual_sub_f32 v22, v14, v22 :: v_dual_add_f32 v7, v36, v8
	v_dual_fmac_f32 v82, v51, v0 :: v_dual_sub_f32 v27, v16, v27
	s_delay_alu instid0(VALU_DEP_3)
	v_dual_sub_f32 v30, v76, v80 :: v_dual_add_f32 v15, v41, v33
	v_fma_f32 v24, v24, 2.0, -v8
	v_fma_f32 v45, v45, 2.0, -v41
	v_dual_sub_f32 v8, v22, v11 :: v_dual_add_f32 v107, v43, v46
	v_dual_sub_f32 v10, v25, v23 :: v_dual_add_f32 v11, v38, v21
	v_sub_f32_e32 v23, v70, v74
	v_sub_f32_e32 v32, v18, v32
	v_fma_f32 v51, v14, 2.0, -v22
	s_delay_alu instid0(VALU_DEP_4)
	v_fma_f32 v25, v25, 2.0, -v10
	v_fma_f32 v59, v17, 2.0, -v38
	;; [unrolled: 1-line block ×4, first 2 shown]
	v_sub_f32_e32 v34, v82, v86
	v_fma_f32 v62, v19, 2.0, -v39
	v_fma_f32 v63, v76, 2.0, -v30
	v_sub_f32_e32 v42, v4, v6
	v_dual_sub_f32 v6, v20, v9 :: v_dual_add_f32 v9, v37, v10
	v_fma_f32 v61, v18, 2.0, -v32
	v_sub_f32_e32 v21, v56, v57
	v_fma_f32 v29, v29, 2.0, -v28
	v_fma_f32 v48, v12, 2.0, -v20
	;; [unrolled: 1-line block ×3, first 2 shown]
	v_dual_sub_f32 v12, v32, v30 :: v_dual_add_f32 v13, v39, v28
	v_fma_f32 v44, v44, 2.0, -v40
	v_fma_f32 v64, v31, 2.0, -v33
	;; [unrolled: 1-line block ×4, first 2 shown]
	v_sub_f32_e32 v17, v49, v50
	v_fma_f32 v66, v35, 2.0, -v46
	v_fma_f32 v18, v20, 2.0, -v6
	v_sub_f32_e32 v20, v51, v25
	v_sub_f32_e32 v25, v59, v60
	v_fma_f32 v65, v82, 2.0, -v34
	v_dual_sub_f32 v28, v61, v29 :: v_dual_sub_f32 v29, v62, v63
	v_fma_f32 v4, v4, 2.0, -v42
	v_sub_f32_e32 v106, v42, v47
	v_sub_f32_e32 v16, v48, v24
	;; [unrolled: 1-line block ×6, first 2 shown]
	v_fma_f32 v30, v32, 2.0, -v12
	v_dual_sub_f32 v32, v44, v64 :: v_dual_sub_f32 v33, v45, v65
	v_sub_f32_e32 v148, v5, v67
	v_fma_f32 v145, v42, 2.0, -v106
	v_fma_f32 v146, v43, 2.0, -v107
	;; [unrolled: 1-line block ×20, first 2 shown]
	ds_store_2addr_b64 v164, v[16:17], v[6:7] offset0:16 offset1:24
	ds_store_2addr_b64 v164, v[36:37], v[18:19] offset1:8
	ds_store_2addr_b64 v163, v[38:39], v[22:23] offset1:8
	ds_store_2addr_b64 v163, v[20:21], v[8:9] offset0:16 offset1:24
	ds_store_2addr_b64 v162, v[40:41], v[26:27] offset1:8
	ds_store_2addr_b64 v162, v[24:25], v[10:11] offset0:16 offset1:24
	ds_store_2addr_b64 v161, v[42:43], v[30:31] offset1:8
	ds_store_2addr_b64 v161, v[28:29], v[12:13] offset0:16 offset1:24
	ds_store_2addr_b64 v160, v[44:45], v[34:35] offset1:8
	ds_store_2addr_b64 v160, v[32:33], v[14:15] offset0:16 offset1:24
	s_and_saveexec_b32 s1, s0
	s_cbranch_execz .LBB0_11
; %bb.10:
	v_and_or_b32 v6, 0x13e0, v156, v155
	v_fma_f32 v5, v5, 2.0, -v148
	v_fma_f32 v4, v4, 2.0, -v147
	s_delay_alu instid0(VALU_DEP_3)
	v_lshlrev_b32_e32 v6, 3, v6
	ds_store_2addr_b64 v6, v[4:5], v[145:146] offset1:8
	ds_store_2addr_b64 v6, v[147:148], v[106:107] offset0:16 offset1:24
.LBB0_11:
	s_wait_alu 0xfffe
	s_or_b32 exec_lo, exec_lo, s1
	v_and_b32_e32 v22, 31, v154
	global_wb scope:SCOPE_SE
	s_wait_dscnt 0x0
	s_barrier_signal -1
	s_barrier_wait -1
	global_inv scope:SCOPE_SE
	v_mad_co_u64_u32 v[4:5], null, v22, 48, s[2:3]
	v_lshrrev_b32_e32 v51, 5, v154
	v_lshrrev_b32_e32 v60, 5, v53
	;; [unrolled: 1-line block ×3, first 2 shown]
	v_lshrrev_b16 v62, 5, v52
	v_mad_co_u64_u32 v[64:65], null, v154, 48, s[2:3]
	s_clause 0x2
	global_load_b128 v[12:15], v[4:5], off offset:192
	global_load_b128 v[8:11], v[4:5], off offset:208
	;; [unrolled: 1-line block ×3, first 2 shown]
	v_add_nc_u32_e32 v80, 0xe00, v153
	v_add_nc_u32_e32 v69, 0x2a00, v153
	;; [unrolled: 1-line block ×5, first 2 shown]
	ds_load_2addr_b64 v[16:19], v153 offset1:224
	v_add_nc_u32_e32 v77, 0x7e00, v153
	v_add_nc_u32_e32 v78, 0x1c00, v153
	;; [unrolled: 1-line block ×3, first 2 shown]
	ds_load_b64 v[20:21], v153 offset:35840
	ds_load_2addr_b64 v[23:26], v80 offset1:224
	ds_load_2addr_b64 v[27:30], v69 offset1:224
	;; [unrolled: 1-line block ×8, first 2 shown]
	v_mul_u32_u24_e32 v51, 0xe0, v51
	v_add_nc_u32_e32 v81, 0x7000, v153
	v_mul_u32_u24_e32 v66, 0xe0, v60
	v_mul_u32_u24_e32 v71, 0xe0, v61
	v_and_b32_e32 v67, 0xffff, v62
	v_or_b32_e32 v51, v51, v22
	s_delay_alu instid0(VALU_DEP_1)
	v_lshlrev_b32_e32 v167, 3, v51
	s_wait_loadcnt_dscnt 0x207
	v_mul_f32_e32 v51, v25, v13
	s_wait_loadcnt_dscnt 0x105
	v_mul_f32_e32 v72, v34, v9
	v_or_b32_e32 v66, v66, v22
	v_or_b32_e32 v22, v71, v22
	s_wait_dscnt 0x4
	v_mul_f32_e32 v94, v37, v11
	ds_load_2addr_b64 v[60:63], v81 offset1:224
	v_dual_mul_f32 v71, v27, v15 :: v_dual_lshlrev_b32 v166, 3, v66
	v_mul_f32_e32 v73, v33, v9
	s_wait_loadcnt_dscnt 0x4
	v_dual_mul_f32 v84, v41, v5 :: v_dual_lshlrev_b32 v165, 3, v22
	v_mul_f32_e32 v22, v26, v13
	v_mul_u32_u24_e32 v67, 0x2493, v67
	s_wait_dscnt 0x3
	v_dual_mul_f32 v83, v42, v5 :: v_dual_mul_f32 v98, v45, v7
	v_mul_f32_e32 v85, v44, v7
	v_mul_f32_e32 v86, v43, v7
	v_lshrrev_b32_e32 v67, 16, v67
	v_mul_f32_e32 v74, v36, v11
	v_mul_f32_e32 v75, v35, v11
	s_wait_dscnt 0x2
	v_dual_mul_f32 v87, v48, v13 :: v_dual_mul_f32 v102, v31, v15
	v_mul_lo_u16 v66, 0xe0, v67
	v_dual_mul_f32 v67, v28, v15 :: v_dual_mul_f32 v88, v47, v13
	v_mul_f32_e32 v93, v38, v11
	v_mul_f32_e32 v89, v30, v15
	;; [unrolled: 1-line block ×3, first 2 shown]
	s_wait_dscnt 0x1
	v_dual_mul_f32 v91, v57, v9 :: v_dual_mul_f32 v168, v20, v7
	v_dual_mul_f32 v92, v56, v9 :: v_dual_mul_f32 v97, v46, v7
	s_wait_dscnt 0x0
	v_dual_mul_f32 v95, v61, v5 :: v_dual_fmac_f32 v84, v42, v4
	v_dual_mul_f32 v96, v60, v5 :: v_dual_mul_f32 v149, v39, v11
	v_dual_mul_f32 v99, v50, v13 :: v_dual_mul_f32 v152, v21, v7
	;; [unrolled: 1-line block ×3, first 2 shown]
	v_dual_mul_f32 v103, v59, v9 :: v_dual_fmac_f32 v86, v44, v6
	v_dual_mul_f32 v104, v58, v9 :: v_dual_mul_f32 v105, v40, v11
	v_dual_mul_f32 v150, v63, v5 :: v_dual_fmac_f32 v51, v26, v12
	v_dual_mul_f32 v151, v62, v5 :: v_dual_fmac_f32 v88, v48, v12
	v_fma_f32 v22, v25, v12, -v22
	v_fma_f32 v25, v27, v14, -v67
	v_dual_fmac_f32 v71, v28, v14 :: v_dual_fmac_f32 v92, v57, v8
	v_fma_f32 v26, v33, v8, -v72
	v_fma_f32 v28, v41, v4, -v83
	;; [unrolled: 1-line block ×3, first 2 shown]
	v_dual_fmac_f32 v73, v34, v8 :: v_dual_fmac_f32 v102, v32, v14
	v_fma_f32 v27, v35, v10, -v74
	v_dual_fmac_f32 v75, v36, v10 :: v_dual_fmac_f32 v96, v61, v4
	v_fma_f32 v34, v47, v12, -v87
	v_fma_f32 v29, v29, v14, -v89
	v_dual_fmac_f32 v90, v30, v14 :: v_dual_fmac_f32 v151, v63, v4
	v_fma_f32 v30, v56, v8, -v91
	v_fma_f32 v35, v37, v10, -v93
	v_dual_fmac_f32 v94, v38, v10 :: v_dual_add_f32 v43, v71, v84
	v_fma_f32 v36, v60, v4, -v95
	v_fma_f32 v37, v45, v6, -v97
	v_fmac_f32_e32 v98, v46, v6
	v_fma_f32 v38, v49, v12, -v99
	v_dual_fmac_f32 v100, v50, v12 :: v_dual_fmac_f32 v149, v40, v10
	v_fma_f32 v31, v31, v14, -v101
	v_fma_f32 v32, v58, v8, -v103
	v_fmac_f32_e32 v104, v59, v8
	v_fma_f32 v39, v39, v10, -v105
	v_fma_f32 v40, v62, v4, -v150
	;; [unrolled: 1-line block ×3, first 2 shown]
	v_dual_fmac_f32 v168, v21, v6 :: v_dual_add_f32 v21, v22, v33
	v_dual_add_f32 v41, v51, v86 :: v_dual_sub_f32 v22, v22, v33
	v_dual_sub_f32 v33, v51, v86 :: v_dual_add_f32 v42, v25, v28
	v_sub_f32_e32 v25, v25, v28
	v_dual_sub_f32 v28, v71, v84 :: v_dual_add_f32 v45, v73, v75
	v_dual_add_f32 v44, v26, v27 :: v_dual_add_f32 v47, v88, v98
	v_dual_sub_f32 v26, v27, v26 :: v_dual_add_f32 v49, v90, v96
	v_sub_f32_e32 v27, v75, v73
	v_add_f32_e32 v46, v34, v37
	v_dual_sub_f32 v34, v34, v37 :: v_dual_sub_f32 v37, v88, v98
	v_dual_add_f32 v48, v29, v36 :: v_dual_add_f32 v51, v92, v94
	v_sub_f32_e32 v29, v29, v36
	v_dual_sub_f32 v36, v90, v96 :: v_dual_add_f32 v61, v104, v149
	v_dual_add_f32 v50, v30, v35 :: v_dual_add_f32 v57, v100, v168
	v_dual_sub_f32 v30, v35, v30 :: v_dual_sub_f32 v35, v94, v92
	v_dual_add_f32 v56, v38, v20 :: v_dual_add_f32 v63, v43, v41
	v_dual_sub_f32 v20, v38, v20 :: v_dual_sub_f32 v71, v43, v41
	v_dual_sub_f32 v38, v100, v168 :: v_dual_add_f32 v59, v102, v151
	v_dual_add_f32 v58, v31, v40 :: v_dual_sub_f32 v67, v42, v21
	v_dual_sub_f32 v31, v31, v40 :: v_dual_sub_f32 v40, v102, v151
	v_add_f32_e32 v60, v32, v39
	v_dual_sub_f32 v32, v39, v32 :: v_dual_sub_f32 v41, v41, v45
	v_dual_sub_f32 v39, v149, v104 :: v_dual_add_f32 v62, v42, v21
	v_dual_sub_f32 v21, v21, v44 :: v_dual_sub_f32 v42, v44, v42
	v_dual_sub_f32 v43, v45, v43 :: v_dual_add_f32 v72, v26, v25
	v_dual_add_f32 v73, v27, v28 :: v_dual_sub_f32 v74, v26, v25
	v_sub_f32_e32 v75, v27, v28
	v_dual_sub_f32 v25, v25, v22 :: v_dual_sub_f32 v28, v28, v33
	v_dual_add_f32 v83, v48, v46 :: v_dual_add_f32 v84, v49, v47
	v_dual_sub_f32 v85, v48, v46 :: v_dual_sub_f32 v86, v49, v47
	v_dual_sub_f32 v46, v46, v50 :: v_dual_sub_f32 v47, v47, v51
	;; [unrolled: 1-line block ×3, first 2 shown]
	v_dual_add_f32 v87, v30, v29 :: v_dual_add_f32 v88, v35, v36
	v_dual_sub_f32 v89, v30, v29 :: v_dual_sub_f32 v90, v35, v36
	v_dual_sub_f32 v29, v29, v34 :: v_dual_sub_f32 v36, v36, v37
	v_dual_add_f32 v91, v58, v56 :: v_dual_add_f32 v92, v59, v57
	v_dual_sub_f32 v93, v58, v56 :: v_dual_sub_f32 v94, v59, v57
	v_dual_sub_f32 v56, v56, v60 :: v_dual_sub_f32 v57, v57, v61
	;; [unrolled: 1-line block ×3, first 2 shown]
	v_dual_add_f32 v95, v32, v31 :: v_dual_add_f32 v96, v39, v40
	v_dual_sub_f32 v97, v32, v31 :: v_dual_sub_f32 v98, v39, v40
	v_dual_sub_f32 v31, v31, v20 :: v_dual_sub_f32 v40, v40, v38
	v_dual_add_f32 v44, v44, v62 :: v_dual_add_f32 v45, v45, v63
	v_dual_sub_f32 v26, v22, v26 :: v_dual_sub_f32 v27, v33, v27
	v_dual_sub_f32 v30, v34, v30 :: v_dual_sub_f32 v35, v37, v35
	;; [unrolled: 1-line block ×3, first 2 shown]
	v_dual_add_f32 v22, v72, v22 :: v_dual_add_f32 v33, v73, v33
	v_dual_mul_f32 v21, 0x3f4a47b2, v21 :: v_dual_add_f32 v50, v50, v83
	v_dual_mul_f32 v41, 0x3f4a47b2, v41 :: v_dual_add_f32 v34, v87, v34
	v_dual_mul_f32 v62, 0x3d64c772, v42 :: v_dual_mul_f32 v63, 0x3d64c772, v43
	v_dual_mul_f32 v72, 0xbf08b237, v74 :: v_dual_mul_f32 v73, 0xbf08b237, v75
	;; [unrolled: 1-line block ×3, first 2 shown]
	v_dual_add_f32 v51, v51, v84 :: v_dual_mul_f32 v46, 0x3f4a47b2, v46
	v_dual_add_f32 v37, v88, v37 :: v_dual_mul_f32 v88, 0xbf08b237, v90
	v_dual_mul_f32 v47, 0x3f4a47b2, v47 :: v_dual_add_f32 v38, v96, v38
	v_dual_mul_f32 v83, 0x3d64c772, v48 :: v_dual_mul_f32 v84, 0x3d64c772, v49
	v_dual_mul_f32 v87, 0xbf08b237, v89 :: v_dual_add_f32 v60, v60, v91
	v_dual_mul_f32 v89, 0x3f5ff5aa, v29 :: v_dual_mul_f32 v90, 0x3f5ff5aa, v36
	v_dual_add_f32 v61, v61, v92 :: v_dual_mul_f32 v92, 0x3d64c772, v58
	v_dual_add_f32 v91, v95, v20 :: v_dual_mul_f32 v96, 0xbf08b237, v97
	v_dual_mul_f32 v56, 0x3f4a47b2, v56 :: v_dual_mul_f32 v57, 0x3f4a47b2, v57
	v_dual_mul_f32 v95, 0x3d64c772, v59 :: v_dual_add_f32 v16, v16, v44
	v_dual_mul_f32 v97, 0xbf08b237, v98 :: v_dual_add_f32 v20, v23, v60
	v_dual_mul_f32 v98, 0x3f5ff5aa, v31 :: v_dual_mul_f32 v99, 0x3f5ff5aa, v40
	v_dual_add_f32 v17, v17, v45 :: v_dual_fmamk_f32 v42, v42, 0x3d64c772, v21
	v_dual_fmamk_f32 v43, v43, 0x3d64c772, v41 :: v_dual_add_f32 v18, v18, v50
	v_fma_f32 v62, 0x3f3bfb3b, v67, -v62
	v_fma_f32 v63, 0x3f3bfb3b, v71, -v63
	;; [unrolled: 1-line block ×4, first 2 shown]
	v_dual_fmamk_f32 v71, v26, 0x3eae86e6, v72 :: v_dual_fmamk_f32 v100, v27, 0x3eae86e6, v73
	v_fma_f32 v72, 0x3f5ff5aa, v25, -v72
	v_fma_f32 v28, 0x3f5ff5aa, v28, -v73
	;; [unrolled: 1-line block ×4, first 2 shown]
	v_dual_add_f32 v19, v19, v51 :: v_dual_fmamk_f32 v26, v49, 0x3d64c772, v47
	v_fmamk_f32 v25, v48, 0x3d64c772, v46
	v_fma_f32 v27, 0x3f3bfb3b, v85, -v83
	v_fma_f32 v48, 0x3f3bfb3b, v86, -v84
	;; [unrolled: 1-line block ×3, first 2 shown]
	v_fmamk_f32 v49, v30, 0x3eae86e6, v87
	v_fma_f32 v83, 0x3f5ff5aa, v29, -v87
	v_fma_f32 v84, 0x3f5ff5aa, v36, -v88
	;; [unrolled: 1-line block ×3, first 2 shown]
	v_dual_add_f32 v21, v24, v61 :: v_dual_fmamk_f32 v24, v59, 0x3d64c772, v57
	v_fma_f32 v36, 0xbf3bfb3b, v94, -v57
	v_fma_f32 v57, 0x3f5ff5aa, v31, -v96
	;; [unrolled: 1-line block ×3, first 2 shown]
	v_fmamk_f32 v31, v44, 0xbf955555, v16
	v_fmamk_f32 v87, v32, 0x3eae86e6, v96
	;; [unrolled: 1-line block ×5, first 2 shown]
	v_fma_f32 v35, 0xbf3bfb3b, v93, -v56
	v_fmamk_f32 v88, v39, 0x3eae86e6, v97
	v_fma_f32 v56, 0x3f5ff5aa, v40, -v97
	v_fma_f32 v58, 0xbeae86e6, v39, -v99
	;; [unrolled: 1-line block ×4, first 2 shown]
	v_dual_fmac_f32 v71, 0x3ee1c552, v22 :: v_dual_fmac_f32 v100, 0x3ee1c552, v33
	v_dual_fmac_f32 v28, 0x3ee1c552, v33 :: v_dual_fmac_f32 v73, 0x3ee1c552, v22
	;; [unrolled: 1-line block ×4, first 2 shown]
	v_fmac_f32_e32 v58, 0x3ee1c552, v38
	v_add_f32_e32 v38, v42, v31
	v_dual_fmac_f32 v72, 0x3ee1c552, v22 :: v_dual_fmac_f32 v75, 0x3ee1c552, v37
	v_fmamk_f32 v22, v50, 0xbf955555, v18
	v_add_f32_e32 v40, v62, v31
	v_dual_fmac_f32 v87, 0x3ee1c552, v91 :: v_dual_add_f32 v42, v63, v32
	v_dual_fmac_f32 v74, 0x3ee1c552, v33 :: v_dual_fmac_f32 v49, 0x3ee1c552, v34
	v_fmamk_f32 v33, v51, 0xbf955555, v19
	v_fma_f32 v29, 0x3f3bfb3b, v93, -v92
	v_fma_f32 v30, 0x3f3bfb3b, v94, -v95
	v_dual_fmac_f32 v83, 0x3ee1c552, v34 :: v_dual_fmac_f32 v84, 0x3ee1c552, v37
	v_dual_fmac_f32 v85, 0x3ee1c552, v34 :: v_dual_fmac_f32 v86, 0x3ee1c552, v37
	v_dual_fmamk_f32 v34, v60, 0xbf955555, v20 :: v_dual_fmamk_f32 v37, v61, 0xbf955555, v21
	v_dual_add_f32 v39, v43, v32 :: v_dual_add_f32 v44, v25, v22
	v_dual_add_f32 v31, v67, v31 :: v_dual_add_f32 v46, v46, v22
	;; [unrolled: 1-line block ×3, first 2 shown]
	s_delay_alu instid0(VALU_DEP_4)
	v_add_f32_e32 v60, v23, v34
	v_add_f32_e32 v41, v27, v22
	v_dual_add_f32 v43, v48, v33 :: v_dual_add_f32 v62, v29, v34
	v_dual_add_f32 v47, v47, v33 :: v_dual_add_f32 v22, v100, v38
	v_add_f32_e32 v61, v24, v37
	v_dual_add_f32 v63, v30, v37 :: v_dual_sub_f32 v26, v40, v28
	v_dual_add_f32 v67, v35, v34 :: v_dual_add_f32 v28, v28, v40
	v_add_f32_e32 v89, v36, v37
	v_dual_sub_f32 v23, v39, v71 :: v_dual_add_f32 v36, v86, v46
	v_dual_add_f32 v24, v74, v31 :: v_dual_sub_f32 v25, v32, v73
	v_dual_add_f32 v34, v75, v44 :: v_dual_add_f32 v27, v72, v42
	v_dual_sub_f32 v29, v42, v72 :: v_dual_add_f32 v40, v84, v41
	v_dual_sub_f32 v30, v31, v74 :: v_dual_add_f32 v31, v73, v32
	v_sub_f32_e32 v42, v46, v86
	v_dual_sub_f32 v32, v38, v100 :: v_dual_add_f32 v33, v71, v39
	v_dual_add_f32 v46, v88, v60 :: v_dual_sub_f32 v35, v45, v49
	v_sub_f32_e32 v44, v44, v75
	global_wb scope:SCOPE_SE
	s_barrier_signal -1
	s_barrier_wait -1
	global_inv scope:SCOPE_SE
	v_dual_sub_f32 v37, v47, v85 :: v_dual_add_f32 v48, v58, v67
	v_dual_sub_f32 v38, v41, v84 :: v_dual_add_f32 v39, v83, v43
	v_dual_sub_f32 v50, v62, v56 :: v_dual_sub_f32 v41, v43, v83
	v_dual_add_f32 v56, v56, v62 :: v_dual_add_f32 v43, v85, v47
	v_dual_sub_f32 v58, v67, v58 :: v_dual_add_f32 v45, v49, v45
	v_dual_sub_f32 v60, v60, v88 :: v_dual_sub_f32 v47, v61, v87
	v_sub_f32_e32 v49, v89, v59
	v_add_f32_e32 v51, v57, v63
	v_sub_f32_e32 v57, v63, v57
	v_add_f32_e32 v59, v59, v89
	v_add_f32_e32 v61, v87, v61
	ds_store_2addr_b64 v167, v[16:17], v[22:23] offset1:32
	ds_store_2addr_b64 v167, v[24:25], v[26:27] offset0:64 offset1:96
	ds_store_2addr_b64 v167, v[28:29], v[30:31] offset0:128 offset1:160
	ds_store_b64 v167, v[32:33] offset:1536
	ds_store_2addr_b64 v166, v[18:19], v[34:35] offset1:32
	ds_store_2addr_b64 v166, v[36:37], v[38:39] offset0:64 offset1:96
	ds_store_2addr_b64 v166, v[40:41], v[42:43] offset0:128 offset1:160
	ds_store_b64 v166, v[44:45] offset:1536
	;; [unrolled: 4-line block ×3, first 2 shown]
	v_sub_nc_u16 v40, v52, v66
	global_wb scope:SCOPE_SE
	s_wait_dscnt 0x0
	s_barrier_signal -1
	s_barrier_wait -1
	global_inv scope:SCOPE_SE
	v_mul_lo_u16 v16, v40, 48
	s_clause 0x2
	global_load_b128 v[36:39], v[64:65], off offset:1728
	global_load_b128 v[32:35], v[64:65], off offset:1744
	;; [unrolled: 1-line block ×3, first 2 shown]
	v_and_b32_e32 v40, 0xffff, v40
	v_and_b32_e32 v16, 0xffff, v16
	s_delay_alu instid0(VALU_DEP_2) | instskip(NEXT) | instid1(VALU_DEP_2)
	v_lshlrev_b32_e32 v168, 3, v40
	v_add_co_u32 v16, s1, s2, v16
	s_wait_alu 0xf1ff
	v_add_co_ci_u32_e64 v17, null, s3, 0, s1
	s_clause 0x2
	global_load_b128 v[24:27], v[16:17], off offset:1728
	global_load_b128 v[20:23], v[16:17], off offset:1744
	;; [unrolled: 1-line block ×3, first 2 shown]
	ds_load_2addr_b64 v[40:43], v80 offset1:224
	ds_load_2addr_b64 v[44:47], v69 offset1:224
	;; [unrolled: 1-line block ×10, first 2 shown]
	ds_load_b64 v[95:96], v153 offset:35840
	v_lshlrev_b32_e32 v75, 4, v154
	v_lshlrev_b32_e32 v53, 4, v53
	v_add_nc_u32_e32 v97, 0x6200, v168
	v_add_nc_u32_e32 v99, 0x7e00, v168
	;; [unrolled: 1-line block ×3, first 2 shown]
	global_wb scope:SCOPE_SE
	s_wait_loadcnt_dscnt 0x0
	s_barrier_signal -1
	s_barrier_wait -1
	global_inv scope:SCOPE_SE
	v_mul_f32_e32 v100, v43, v37
	v_dual_mul_f32 v101, v42, v37 :: v_dual_mul_f32 v102, v45, v39
	v_dual_mul_f32 v103, v44, v39 :: v_dual_mul_f32 v172, v83, v37
	v_mul_f32_e32 v104, v51, v33
	v_mul_f32_e32 v105, v50, v33
	v_dual_mul_f32 v149, v57, v35 :: v_dual_mul_f32 v176, v87, v33
	v_dual_mul_f32 v150, v56, v35 :: v_dual_mul_f32 v151, v63, v29
	v_mul_f32_e32 v174, v46, v39
	v_dual_mul_f32 v152, v62, v29 :: v_dual_mul_f32 v169, v65, v31
	v_mul_f32_e32 v180, v91, v29
	v_mul_f32_e32 v170, v64, v31
	v_dual_mul_f32 v171, v84, v37 :: v_dual_mul_f32 v178, v58, v35
	v_dual_mul_f32 v173, v47, v39 :: v_dual_mul_f32 v184, v85, v25
	;; [unrolled: 1-line block ×6, first 2 shown]
	v_dual_mul_f32 v183, v86, v25 :: v_dual_fmac_f32 v150, v57, v34
	v_dual_mul_f32 v185, v49, v27 :: v_dual_fmac_f32 v152, v63, v28
	v_dual_mul_f32 v186, v48, v27 :: v_dual_mul_f32 v187, v90, v21
	v_fmac_f32_e32 v170, v65, v30
	v_dual_mul_f32 v189, v61, v23 :: v_dual_fmac_f32 v172, v84, v36
	v_dual_mul_f32 v190, v60, v23 :: v_dual_mul_f32 v191, v94, v17
	v_dual_fmac_f32 v174, v47, v38 :: v_dual_mul_f32 v193, v96, v19
	v_fmac_f32_e32 v178, v59, v34
	v_fma_f32 v42, v42, v36, -v100
	v_dual_fmac_f32 v101, v43, v36 :: v_dual_fmac_f32 v186, v49, v26
	v_fma_f32 v43, v44, v38, -v102
	v_dual_fmac_f32 v103, v45, v38 :: v_dual_fmac_f32 v176, v88, v32
	v_fma_f32 v44, v50, v32, -v104
	v_dual_fmac_f32 v105, v51, v32 :: v_dual_fmac_f32 v190, v61, v22
	v_fma_f32 v45, v56, v34, -v149
	v_fma_f32 v50, v62, v28, -v151
	v_fma_f32 v51, v64, v30, -v169
	v_fma_f32 v56, v83, v36, -v171
	v_fma_f32 v46, v46, v38, -v173
	v_fma_f32 v47, v87, v32, -v175
	v_fma_f32 v57, v58, v34, -v177
	v_fma_f32 v58, v91, v28, -v179
	v_fma_f32 v59, v66, v30, -v181
	v_dual_fmac_f32 v180, v92, v28 :: v_dual_add_f32 v65, v101, v170
	v_dual_fmac_f32 v182, v67, v30 :: v_dual_add_f32 v83, v44, v45
	v_fma_f32 v62, v85, v24, -v183
	v_fmac_f32_e32 v184, v86, v24
	v_fma_f32 v48, v48, v26, -v185
	v_fma_f32 v49, v89, v20, -v187
	v_fmac_f32_e32 v188, v90, v20
	v_fma_f32 v60, v60, v22, -v189
	v_fma_f32 v61, v93, v16, -v191
	v_dual_fmac_f32 v192, v94, v16 :: v_dual_add_f32 v85, v56, v59
	v_fma_f32 v63, v95, v18, -v193
	v_dual_fmac_f32 v194, v96, v18 :: v_dual_add_f32 v67, v103, v152
	v_add_f32_e32 v64, v42, v51
	v_dual_sub_f32 v42, v42, v51 :: v_dual_add_f32 v89, v47, v57
	v_sub_f32_e32 v51, v101, v170
	v_add_f32_e32 v66, v43, v50
	v_sub_f32_e32 v43, v43, v50
	v_dual_sub_f32 v50, v103, v152 :: v_dual_add_f32 v87, v46, v58
	v_add_f32_e32 v84, v105, v150
	v_dual_sub_f32 v44, v45, v44 :: v_dual_add_f32 v91, v62, v63
	v_dual_sub_f32 v45, v150, v105 :: v_dual_add_f32 v86, v172, v182
	v_sub_f32_e32 v47, v57, v47
	v_sub_f32_e32 v56, v56, v59
	v_dual_sub_f32 v59, v172, v182 :: v_dual_add_f32 v88, v174, v180
	v_dual_sub_f32 v46, v46, v58 :: v_dual_add_f32 v93, v48, v61
	v_sub_f32_e32 v58, v174, v180
	v_dual_add_f32 v90, v176, v178 :: v_dual_add_f32 v95, v49, v60
	v_dual_sub_f32 v57, v178, v176 :: v_dual_add_f32 v92, v184, v194
	v_dual_add_f32 v101, v67, v65 :: v_dual_sub_f32 v62, v62, v63
	v_sub_f32_e32 v103, v67, v65
	v_dual_sub_f32 v63, v184, v194 :: v_dual_add_f32 v94, v186, v192
	v_sub_f32_e32 v67, v84, v67
	v_dual_sub_f32 v48, v48, v61 :: v_dual_sub_f32 v65, v65, v84
	v_dual_sub_f32 v61, v186, v192 :: v_dual_add_f32 v96, v188, v190
	v_dual_sub_f32 v49, v60, v49 :: v_dual_sub_f32 v60, v190, v188
	v_dual_add_f32 v105, v45, v50 :: v_dual_add_f32 v100, v66, v64
	v_dual_sub_f32 v149, v44, v43 :: v_dual_sub_f32 v102, v66, v64
	v_dual_sub_f32 v151, v43, v42 :: v_dual_sub_f32 v64, v64, v83
	v_sub_f32_e32 v66, v83, v66
	v_dual_add_f32 v104, v44, v43 :: v_dual_sub_f32 v169, v87, v85
	v_sub_f32_e32 v150, v45, v50
	v_dual_sub_f32 v50, v50, v51 :: v_dual_add_f32 v171, v47, v46
	v_add_f32_e32 v43, v87, v85
	v_dual_sub_f32 v85, v85, v89 :: v_dual_sub_f32 v44, v42, v44
	v_sub_f32_e32 v87, v89, v87
	v_dual_sub_f32 v45, v51, v45 :: v_dual_add_f32 v152, v88, v86
	v_dual_sub_f32 v170, v88, v86 :: v_dual_add_f32 v175, v93, v91
	v_dual_sub_f32 v86, v86, v90 :: v_dual_sub_f32 v177, v93, v91
	v_dual_sub_f32 v88, v90, v88 :: v_dual_sub_f32 v173, v47, v46
	v_dual_add_f32 v172, v57, v58 :: v_dual_sub_f32 v91, v91, v95
	v_dual_sub_f32 v174, v57, v58 :: v_dual_sub_f32 v93, v95, v93
	v_dual_sub_f32 v47, v56, v47 :: v_dual_sub_f32 v46, v46, v56
	v_dual_sub_f32 v58, v58, v59 :: v_dual_add_f32 v179, v49, v48
	v_dual_add_f32 v176, v94, v92 :: v_dual_add_f32 v51, v105, v51
	v_dual_sub_f32 v178, v94, v92 :: v_dual_mul_f32 v65, 0x3f4a47b2, v65
	v_sub_f32_e32 v92, v92, v96
	v_dual_sub_f32 v94, v96, v94 :: v_dual_sub_f32 v181, v49, v48
	v_dual_add_f32 v180, v60, v61 :: v_dual_add_f32 v83, v83, v100
	v_sub_f32_e32 v182, v60, v61
	v_dual_sub_f32 v60, v63, v60 :: v_dual_mul_f32 v105, 0xbf08b237, v149
	v_dual_sub_f32 v48, v48, v62 :: v_dual_add_f32 v89, v89, v43
	v_dual_add_f32 v84, v84, v101 :: v_dual_mul_f32 v149, 0xbf08b237, v150
	v_dual_add_f32 v100, v104, v42 :: v_dual_mul_f32 v85, 0x3f4a47b2, v85
	v_mul_f32_e32 v64, 0x3f4a47b2, v64
	v_dual_mul_f32 v101, 0x3d64c772, v66 :: v_dual_mul_f32 v104, 0x3d64c772, v67
	v_dual_mul_f32 v150, 0x3f5ff5aa, v151 :: v_dual_mul_f32 v183, 0x3f5ff5aa, v50
	v_sub_f32_e32 v57, v59, v57
	v_sub_f32_e32 v49, v62, v49
	v_dual_sub_f32 v61, v61, v63 :: v_dual_add_f32 v90, v90, v152
	v_dual_add_f32 v56, v171, v56 :: v_dual_add_f32 v63, v180, v63
	v_dual_add_f32 v59, v172, v59 :: v_dual_mul_f32 v86, 0x3f4a47b2, v86
	v_add_f32_e32 v95, v95, v175
	v_dual_mul_f32 v152, 0x3d64c772, v87 :: v_dual_mul_f32 v175, 0x3d64c772, v93
	v_mul_f32_e32 v171, 0x3d64c772, v88
	v_dual_mul_f32 v172, 0xbf08b237, v173 :: v_dual_add_f32 v43, v72, v84
	v_mul_f32_e32 v173, 0xbf08b237, v174
	v_mul_f32_e32 v174, 0x3f5ff5aa, v46
	v_dual_add_f32 v96, v96, v176 :: v_dual_mul_f32 v91, 0x3f4a47b2, v91
	v_dual_add_f32 v62, v179, v62 :: v_dual_mul_f32 v179, 0xbf08b237, v181
	v_mul_f32_e32 v92, 0x3f4a47b2, v92
	v_dual_mul_f32 v176, 0x3d64c772, v94 :: v_dual_fmamk_f32 v67, v67, 0x3d64c772, v65
	v_dual_mul_f32 v181, 0x3f5ff5aa, v48 :: v_dual_add_f32 v42, v71, v83
	v_fma_f32 v71, 0x3f3bfb3b, v102, -v101
	v_fmamk_f32 v101, v44, 0x3eae86e6, v105
	v_fma_f32 v72, 0x3f3bfb3b, v103, -v104
	v_fma_f32 v65, 0xbf3bfb3b, v103, -v65
	v_fmamk_f32 v66, v66, 0x3d64c772, v64
	v_fma_f32 v64, 0xbf3bfb3b, v102, -v64
	v_fma_f32 v103, 0x3f5ff5aa, v151, -v105
	;; [unrolled: 1-line block ×4, first 2 shown]
	v_dual_add_f32 v44, v73, v89 :: v_dual_fmamk_f32 v73, v88, 0x3d64c772, v86
	v_fmamk_f32 v50, v87, 0x3d64c772, v85
	v_fmamk_f32 v102, v45, 0x3eae86e6, v149
	v_fma_f32 v149, 0xbeae86e6, v45, -v183
	v_dual_mul_f32 v184, 0x3f5ff5aa, v58 :: v_dual_add_f32 v41, v41, v96
	v_add_f32_e32 v45, v74, v90
	v_fma_f32 v74, 0x3f3bfb3b, v169, -v152
	v_fma_f32 v87, 0x3f3bfb3b, v170, -v171
	v_dual_fmamk_f32 v88, v47, 0x3eae86e6, v172 :: v_dual_fmamk_f32 v171, v49, 0x3eae86e6, v179
	v_fma_f32 v151, 0x3f5ff5aa, v46, -v172
	v_fma_f32 v152, 0x3f5ff5aa, v58, -v173
	v_fma_f32 v58, 0x3f3bfb3b, v178, -v176
	v_fmamk_f32 v46, v93, 0x3d64c772, v91
	v_fma_f32 v93, 0x3f5ff5aa, v48, -v179
	v_fmamk_f32 v48, v83, 0xbf955555, v42
	v_dual_fmac_f32 v102, 0x3ee1c552, v51 :: v_dual_fmac_f32 v103, 0x3ee1c552, v100
	v_dual_fmac_f32 v104, 0x3ee1c552, v51 :: v_dual_fmac_f32 v105, 0x3ee1c552, v100
	;; [unrolled: 1-line block ×3, first 2 shown]
	v_fmamk_f32 v51, v89, 0xbf955555, v44
	v_fmamk_f32 v150, v57, 0x3eae86e6, v173
	v_fma_f32 v173, 0xbeae86e6, v49, -v181
	v_fmamk_f32 v49, v84, 0xbf955555, v43
	v_fma_f32 v85, 0xbf3bfb3b, v169, -v85
	v_fma_f32 v86, 0xbf3bfb3b, v170, -v86
	;; [unrolled: 1-line block ×4, first 2 shown]
	v_dual_add_f32 v65, v65, v49 :: v_dual_mul_f32 v180, 0xbf08b237, v182
	v_mul_f32_e32 v182, 0x3f5ff5aa, v61
	v_dual_add_f32 v40, v40, v95 :: v_dual_fmac_f32 v101, 0x3ee1c552, v100
	v_fmamk_f32 v47, v94, 0x3d64c772, v92
	s_delay_alu instid0(VALU_DEP_4) | instskip(NEXT) | instid1(VALU_DEP_4)
	v_fma_f32 v94, 0x3f5ff5aa, v61, -v180
	v_fma_f32 v174, 0xbeae86e6, v60, -v182
	v_dual_add_f32 v61, v66, v48 :: v_dual_fmamk_f32 v172, v60, 0x3eae86e6, v180
	v_fmamk_f32 v60, v90, 0xbf955555, v45
	v_fma_f32 v92, 0xbf3bfb3b, v178, -v92
	v_dual_fmac_f32 v151, 0x3ee1c552, v56 :: v_dual_fmac_f32 v152, 0x3ee1c552, v59
	v_dual_fmac_f32 v169, 0x3ee1c552, v56 :: v_dual_fmac_f32 v170, 0x3ee1c552, v59
	v_fmac_f32_e32 v171, 0x3ee1c552, v62
	v_fmamk_f32 v56, v95, 0xbf955555, v40
	v_dual_fmac_f32 v94, 0x3ee1c552, v63 :: v_dual_fmac_f32 v173, 0x3ee1c552, v62
	v_fmac_f32_e32 v174, 0x3ee1c552, v63
	v_add_f32_e32 v84, v73, v60
	v_add_f32_e32 v73, v85, v51
	v_dual_fmac_f32 v172, 0x3ee1c552, v63 :: v_dual_fmac_f32 v93, 0x3ee1c552, v62
	v_add_f32_e32 v63, v71, v48
	v_add_f32_e32 v71, v74, v51
	v_fmac_f32_e32 v150, 0x3ee1c552, v59
	v_fmamk_f32 v59, v96, 0xbf955555, v41
	v_fma_f32 v57, 0x3f3bfb3b, v177, -v175
	v_fma_f32 v91, 0xbf3bfb3b, v177, -v91
	v_add_f32_e32 v62, v67, v49
	s_delay_alu instid0(VALU_DEP_4)
	v_dual_add_f32 v74, v86, v60 :: v_dual_add_f32 v177, v92, v59
	v_add_f32_e32 v66, v72, v49
	v_dual_add_f32 v64, v64, v48 :: v_dual_add_f32 v83, v50, v51
	v_dual_add_f32 v72, v87, v60 :: v_dual_sub_f32 v49, v65, v105
	v_add_f32_e32 v175, v58, v59
	v_add_f32_e32 v95, v46, v56
	;; [unrolled: 1-line block ×3, first 2 shown]
	s_delay_alu instid0(VALU_DEP_4) | instskip(NEXT) | instid1(VALU_DEP_3)
	v_dual_add_f32 v46, v102, v61 :: v_dual_add_f32 v67, v151, v72
	v_dual_sub_f32 v60, v61, v102 :: v_dual_add_f32 v85, v172, v95
	v_add_f32_e32 v61, v101, v62
	v_dual_add_f32 v100, v57, v56 :: v_dual_sub_f32 v57, v66, v103
	v_add_f32_e32 v51, v103, v66
	v_dual_add_f32 v96, v47, v59 :: v_dual_sub_f32 v47, v62, v101
	v_add_f32_e32 v48, v149, v64
	v_sub_f32_e32 v50, v63, v104
	v_dual_add_f32 v56, v104, v63 :: v_dual_add_f32 v59, v105, v65
	v_sub_f32_e32 v65, v74, v169
	v_dual_sub_f32 v58, v64, v149 :: v_dual_add_f32 v87, v174, v176
	v_dual_add_f32 v62, v150, v83 :: v_dual_sub_f32 v89, v100, v94
	v_dual_sub_f32 v63, v84, v88 :: v_dual_add_f32 v64, v170, v73
	v_dual_sub_f32 v66, v71, v152 :: v_dual_add_f32 v71, v152, v71
	;; [unrolled: 1-line block ×3, first 2 shown]
	v_sub_f32_e32 v73, v73, v170
	v_dual_add_f32 v74, v169, v74 :: v_dual_sub_f32 v95, v95, v172
	v_dual_sub_f32 v83, v83, v150 :: v_dual_add_f32 v84, v88, v84
	v_sub_f32_e32 v86, v96, v171
	v_sub_f32_e32 v88, v177, v173
	v_add_f32_e32 v90, v93, v175
	v_dual_sub_f32 v92, v175, v93 :: v_dual_sub_f32 v93, v176, v174
	v_add_f32_e32 v94, v173, v177
	v_add_f32_e32 v96, v171, v96
	ds_store_2addr_b64 v153, v[42:43], v[46:47] offset1:224
	ds_store_2addr_b64 v80, v[48:49], v[50:51] offset1:224
	;; [unrolled: 1-line block ×10, first 2 shown]
	ds_store_b64 v168, v[95:96] offset:35840
	global_wb scope:SCOPE_SE
	s_wait_dscnt 0x0
	s_barrier_signal -1
	s_barrier_wait -1
	global_inv scope:SCOPE_SE
	global_load_b128 v[60:63], v53, s[2:3] offset:12480
	v_lshlrev_b32_e32 v40, 4, v52
	v_lshlrev_b32_e32 v41, 4, v55
	s_clause 0x1
	global_load_b128 v[64:67], v75, s[2:3] offset:12480
	global_load_b128 v[56:59], v40, s[2:3] offset:12480
	v_lshlrev_b32_e32 v40, 4, v54
	s_clause 0x1
	global_load_b128 v[52:55], v41, s[2:3] offset:12480
	global_load_b128 v[48:51], v40, s[2:3] offset:12480
	v_lshlrev_b32_e32 v41, 4, v68
	v_add_nc_u32_e32 v40, 0x5400, v75
	s_clause 0x1
	global_load_b128 v[44:47], v41, s[2:3] offset:12480
	global_load_b128 v[40:43], v40, s[2:3] offset:12480
	ds_load_2addr_b64 v[72:75], v69 offset1:224
	ds_load_2addr_b64 v[83:86], v70 offset1:224
	;; [unrolled: 1-line block ×10, first 2 shown]
	ds_load_b64 v[103:104], v153 offset:35840
	s_add_nc_u64 s[2:3], s[16:17], 0x9300
	s_wait_loadcnt_dscnt 0x608
	v_mul_f32_e32 v180, v88, v61
	v_dual_mul_f32 v181, v87, v61 :: v_dual_mul_f32 v182, v86, v63
	s_wait_loadcnt 0x5
	v_mul_f32_e32 v105, v75, v65
	v_dual_mul_f32 v177, v74, v65 :: v_dual_mul_f32 v178, v84, v67
	v_mul_f32_e32 v179, v83, v67
	s_wait_loadcnt 0x4
	v_dual_mul_f32 v183, v85, v63 :: v_dual_mul_f32 v184, v90, v57
	s_wait_dscnt 0x7
	v_dual_mul_f32 v185, v89, v57 :: v_dual_mul_f32 v186, v92, v59
	v_fmac_f32_e32 v177, v75, v64
	s_wait_loadcnt_dscnt 0x306
	v_dual_mul_f32 v187, v91, v59 :: v_dual_mul_f32 v188, v96, v53
	v_dual_mul_f32 v189, v95, v53 :: v_dual_mul_f32 v190, v94, v55
	v_fmac_f32_e32 v179, v84, v66
	s_wait_loadcnt 0x2
	v_dual_mul_f32 v191, v93, v55 :: v_dual_mul_f32 v192, v98, v49
	s_wait_loadcnt_dscnt 0x0
	v_mul_f32_e32 v203, v103, v43
	v_dual_mul_f32 v193, v97, v49 :: v_dual_mul_f32 v194, v150, v51
	v_fmac_f32_e32 v181, v88, v60
	v_dual_mul_f32 v195, v149, v51 :: v_dual_mul_f32 v196, v174, v45
	v_fmac_f32_e32 v187, v92, v58
	;; [unrolled: 2-line block ×5, first 2 shown]
	v_fma_f32 v74, v74, v64, -v105
	v_fma_f32 v75, v83, v66, -v178
	;; [unrolled: 1-line block ×7, first 2 shown]
	v_dual_fmac_f32 v189, v96, v52 :: v_dual_add_f32 v92, v99, v74
	v_fma_f32 v91, v93, v54, -v190
	v_fma_f32 v88, v97, v48, -v192
	v_fmac_f32_e32 v193, v98, v48
	v_fma_f32 v93, v149, v50, -v194
	v_dual_fmac_f32 v195, v150, v50 :: v_dual_add_f32 v96, v177, v179
	v_fma_f32 v89, v173, v44, -v196
	v_dual_fmac_f32 v197, v174, v44 :: v_dual_add_f32 v98, v101, v83
	;; [unrolled: 2-line block ×3, first 2 shown]
	v_fma_f32 v90, v175, v40, -v200
	v_dual_fmac_f32 v201, v176, v40 :: v_dual_sub_f32 v150, v181, v183
	v_fma_f32 v103, v103, v42, -v202
	v_dual_fmac_f32 v203, v104, v42 :: v_dual_add_f32 v152, v181, v183
	v_dual_add_f32 v95, v100, v177 :: v_dual_add_f32 v174, v169, v84
	v_dual_add_f32 v149, v83, v85 :: v_dual_sub_f32 v176, v185, v187
	v_dual_sub_f32 v104, v177, v179 :: v_dual_add_f32 v151, v102, v181
	v_add_f32_e32 v178, v185, v187
	v_dual_add_f32 v175, v84, v87 :: v_dual_add_f32 v194, v69, v193
	v_dual_sub_f32 v105, v74, v75 :: v_dual_add_f32 v190, v88, v93
	v_dual_sub_f32 v173, v83, v85 :: v_dual_sub_f32 v180, v84, v87
	v_dual_add_f32 v177, v170, v185 :: v_dual_sub_f32 v184, v189, v191
	v_dual_add_f32 v181, v171, v86 :: v_dual_add_f32 v182, v86, v91
	v_dual_add_f32 v185, v172, v189 :: v_dual_add_f32 v186, v189, v191
	v_dual_sub_f32 v192, v193, v195 :: v_dual_add_f32 v85, v98, v85
	v_dual_add_f32 v193, v193, v195 :: v_dual_sub_f32 v196, v88, v93
	v_add_f32_e32 v198, v70, v89
	v_dual_add_f32 v200, v89, v97 :: v_dual_add_f32 v207, v90, v103
	v_sub_f32_e32 v202, v197, v199
	v_dual_add_f32 v204, v71, v197 :: v_dual_add_f32 v197, v197, v199
	v_sub_f32_e32 v208, v201, v203
	v_dual_add_f32 v209, v73, v201 :: v_dual_sub_f32 v210, v90, v103
	v_add_f32_e32 v201, v201, v203
	v_fma_f32 v83, -0.5, v94, v99
	v_fma_f32 v84, -0.5, v96, v100
	v_dual_sub_f32 v188, v86, v91 :: v_dual_add_f32 v189, v68, v88
	v_dual_sub_f32 v205, v89, v97 :: v_dual_add_f32 v206, v72, v90
	v_add_f32_e32 v74, v92, v75
	v_dual_add_f32 v75, v95, v179 :: v_dual_fmac_f32 v102, -0.5, v152
	v_fma_f32 v101, -0.5, v149, v101
	v_fma_f32 v89, -0.5, v175, v169
	;; [unrolled: 1-line block ×3, first 2 shown]
	v_dual_add_f32 v86, v151, v183 :: v_dual_fmac_f32 v73, -0.5, v201
	v_dual_add_f32 v87, v174, v87 :: v_dual_fmac_f32 v172, -0.5, v186
	v_dual_add_f32 v88, v177, v187 :: v_dual_fmamk_f32 v99, v104, 0x3f5db3d7, v83
	v_fma_f32 v171, -0.5, v182, v171
	v_fma_f32 v95, -0.5, v190, v68
	v_fma_f32 v96, -0.5, v193, v69
	v_fma_f32 v70, -0.5, v200, v70
	v_fmac_f32_e32 v71, -0.5, v197
	v_fma_f32 v72, -0.5, v207, v72
	v_fmamk_f32 v100, v105, 0xbf5db3d7, v84
	v_dual_add_f32 v91, v181, v91 :: v_dual_fmac_f32 v84, 0x3f5db3d7, v105
	v_dual_add_f32 v92, v185, v191 :: v_dual_fmac_f32 v83, 0xbf5db3d7, v104
	v_add_f32_e32 v94, v194, v195
	v_add_f32_e32 v98, v204, v199
	v_dual_add_f32 v68, v206, v103 :: v_dual_fmamk_f32 v169, v176, 0x3f5db3d7, v89
	v_add_f32_e32 v69, v209, v203
	v_fmamk_f32 v103, v150, 0x3f5db3d7, v101
	v_dual_fmac_f32 v101, 0xbf5db3d7, v150 :: v_dual_fmamk_f32 v104, v173, 0xbf5db3d7, v102
	v_fmac_f32_e32 v102, 0x3f5db3d7, v173
	v_add_f32_e32 v93, v189, v93
	v_dual_fmac_f32 v89, 0xbf5db3d7, v176 :: v_dual_fmamk_f32 v170, v180, 0xbf5db3d7, v90
	v_dual_add_f32 v97, v198, v97 :: v_dual_fmac_f32 v90, 0x3f5db3d7, v180
	v_fmamk_f32 v173, v184, 0x3f5db3d7, v171
	v_dual_fmac_f32 v171, 0xbf5db3d7, v184 :: v_dual_fmamk_f32 v174, v188, 0xbf5db3d7, v172
	v_dual_fmac_f32 v172, 0x3f5db3d7, v188 :: v_dual_fmamk_f32 v175, v192, 0x3f5db3d7, v95
	;; [unrolled: 1-line block ×3, first 2 shown]
	v_fmac_f32_e32 v96, 0x3f5db3d7, v196
	v_fmamk_f32 v151, v202, 0x3f5db3d7, v70
	v_fmac_f32_e32 v70, 0xbf5db3d7, v202
	v_fmamk_f32 v152, v205, 0xbf5db3d7, v71
	v_fmac_f32_e32 v71, 0x3f5db3d7, v205
	v_fmamk_f32 v149, v208, 0x3f5db3d7, v72
	v_fmac_f32_e32 v72, 0xbf5db3d7, v208
	v_fmamk_f32 v150, v210, 0xbf5db3d7, v73
	v_fmac_f32_e32 v73, 0x3f5db3d7, v210
	ds_store_b64 v153, v[99:100] offset:12544
	ds_store_b64 v153, v[83:84] offset:25088
	ds_store_2addr_b64 v153, v[74:75], v[85:86] offset1:224
	ds_store_b64 v153, v[101:102] offset:26880
	ds_store_2addr_b64 v82, v[103:104], v[169:170] offset1:224
	ds_store_2addr_b64 v80, v[87:88], v[91:92] offset1:224
	;; [unrolled: 1-line block ×6, first 2 shown]
	ds_store_b64 v153, v[68:69] offset:10752
	ds_store_2addr_b64 v76, v[151:152], v[149:150] offset1:224
	ds_store_b64 v153, v[72:73] offset:35840
	global_wb scope:SCOPE_SE
	s_wait_dscnt 0x0
	s_barrier_signal -1
	s_barrier_wait -1
	global_inv scope:SCOPE_SE
	s_clause 0xf
	global_load_b64 v[75:76], v[108:109], off offset:37632
	global_load_b64 v[88:89], v153, s[2:3] offset:6496
	global_load_b64 v[82:83], v153, s[2:3] offset:1792
	;; [unrolled: 1-line block ×15, first 2 shown]
	ds_load_2addr_b64 v[78:81], v153 offset1:224
	v_add_nc_u32_e32 v91, 0x4900, v153
	v_add_nc_u32_e32 v90, 0x5b00, v153
	v_add_nc_u32_e32 v95, 0x6e00, v153
	v_add_nc_u32_e32 v94, 0x8000, v153
	s_wait_loadcnt_dscnt 0xf00
	v_mul_f32_e32 v84, v79, v76
	v_mul_f32_e32 v77, v78, v76
	s_wait_loadcnt 0xd
	v_mul_f32_e32 v85, v81, v83
	v_mul_f32_e32 v204, v80, v83
	v_fma_f32 v76, v78, v75, -v84
	v_dual_fmac_f32 v77, v79, v75 :: v_dual_add_nc_u32 v78, 0x3700, v153
	s_delay_alu instid0(VALU_DEP_3)
	v_dual_fmac_f32 v204, v81, v82 :: v_dual_add_nc_u32 v79, 0x2400, v153
	v_fma_f32 v203, v80, v82, -v85
	ds_store_b64 v153, v[76:77]
	ds_load_2addr_b64 v[96:99], v78 offset0:4 offset1:228
	v_add_nc_u32_e32 v74, 0x1200, v153
	ds_load_2addr_b64 v[84:87], v79 offset0:24 offset1:248
	ds_load_2addr_b64 v[100:103], v91 offset0:16 offset1:240
	;; [unrolled: 1-line block ×6, first 2 shown]
	ds_store_b64 v153, v[203:204] offset:1792
	s_wait_loadcnt_dscnt 0xa07
	v_mul_f32_e32 v203, v97, v182
	s_wait_dscnt 0x6
	v_mul_f32_e32 v77, v85, v105
	s_wait_loadcnt_dscnt 0x405
	v_dual_mul_f32 v204, v101, v184 :: v_dual_mul_f32 v209, v87, v194
	s_wait_dscnt 0x3
	v_mul_f32_e32 v205, v170, v186
	v_mul_f32_e32 v75, v81, v93
	;; [unrolled: 1-line block ×7, first 2 shown]
	s_wait_loadcnt_dscnt 0x202
	v_dual_mul_f32 v206, v174, v188 :: v_dual_mul_f32 v211, v103, v198
	s_wait_dscnt 0x1
	v_dual_mul_f32 v186, v173, v188 :: v_dual_mul_f32 v207, v178, v190
	v_mul_f32_e32 v188, v177, v190
	s_wait_loadcnt 0x0
	v_dual_mul_f32 v208, v83, v89 :: v_dual_mul_f32 v213, v176, v202
	v_dual_mul_f32 v190, v82, v89 :: v_dual_fmac_f32 v93, v85, v104
	v_dual_mul_f32 v89, v86, v194 :: v_dual_mul_f32 v210, v99, v192
	v_dual_fmac_f32 v105, v97, v181 :: v_dual_mul_f32 v194, v98, v192
	v_mul_f32_e32 v192, v102, v198
	v_mul_f32_e32 v212, v172, v196
	;; [unrolled: 1-line block ×6, first 2 shown]
	v_fma_f32 v75, v80, v92, -v75
	v_fmac_f32_e32 v76, v81, v92
	v_fma_f32 v92, v84, v104, -v77
	v_fma_f32 v104, v96, v181, -v203
	;; [unrolled: 1-line block ×3, first 2 shown]
	v_fmac_f32_e32 v182, v101, v183
	v_fma_f32 v183, v169, v185, -v205
	v_fmac_f32_e32 v184, v170, v185
	v_fma_f32 v185, v173, v187, -v206
	;; [unrolled: 2-line block ×3, first 2 shown]
	v_fmac_f32_e32 v190, v83, v88
	v_fmac_f32_e32 v89, v87, v193
	v_fmac_f32_e32 v188, v178, v189
	v_fma_f32 v189, v82, v88, -v208
	v_fma_f32 v88, v86, v193, -v209
	;; [unrolled: 1-line block ×3, first 2 shown]
	v_fmac_f32_e32 v194, v99, v191
	v_fma_f32 v191, v102, v197, -v211
	v_fmac_f32_e32 v192, v103, v197
	v_fma_f32 v197, v171, v195, -v212
	;; [unrolled: 2-line block ×4, first 2 shown]
	v_fmac_f32_e32 v202, v180, v199
	ds_store_2addr_b64 v74, v[75:76], v[189:190] offset0:12 offset1:236
	ds_store_2addr_b64 v79, v[92:93], v[88:89] offset0:24 offset1:248
	;; [unrolled: 1-line block ×7, first 2 shown]
	s_and_saveexec_b32 s1, vcc_lo
	s_cbranch_execz .LBB0_13
; %bb.12:
	s_wait_alu 0xfffe
	v_add_co_u32 v75, s2, s2, v153
	s_wait_alu 0xf1ff
	v_add_co_ci_u32_e64 v76, null, s3, 0, s2
	s_clause 0x7
	global_load_b64 v[80:81], v[75:76], off offset:3584
	global_load_b64 v[82:83], v[75:76], off offset:8288
	;; [unrolled: 1-line block ×8, first 2 shown]
	ds_load_b64 v[98:99], v153 offset:3584
	ds_load_b64 v[100:101], v153 offset:8288
	;; [unrolled: 1-line block ×8, first 2 shown]
	s_wait_loadcnt_dscnt 0x606
	v_dual_mul_f32 v177, v99, v81 :: v_dual_mul_f32 v178, v101, v83
	s_wait_loadcnt_dscnt 0x404
	v_dual_mul_f32 v77, v98, v81 :: v_dual_mul_f32 v180, v105, v87
	v_mul_f32_e32 v81, v100, v83
	v_mul_f32_e32 v179, v103, v85
	s_wait_loadcnt_dscnt 0x0
	v_dual_mul_f32 v83, v102, v85 :: v_dual_mul_f32 v184, v176, v76
	v_mul_f32_e32 v85, v104, v87
	v_mul_f32_e32 v181, v170, v89
	;; [unrolled: 1-line block ×8, first 2 shown]
	v_fma_f32 v76, v98, v80, -v177
	v_fmac_f32_e32 v77, v99, v80
	v_fma_f32 v80, v100, v82, -v178
	v_fmac_f32_e32 v81, v101, v82
	;; [unrolled: 2-line block ×8, first 2 shown]
	ds_store_b64 v153, v[80:81] offset:8288
	ds_store_b64 v153, v[82:83] offset:12992
	;; [unrolled: 1-line block ×8, first 2 shown]
.LBB0_13:
	s_wait_alu 0xfffe
	s_or_b32 exec_lo, exec_lo, s1
	global_wb scope:SCOPE_SE
	s_wait_dscnt 0x0
	s_barrier_signal -1
	s_barrier_wait -1
	global_inv scope:SCOPE_SE
	ds_load_2addr_b64 v[82:85], v153 offset1:224
	ds_load_2addr_b64 v[74:77], v74 offset0:12 offset1:236
	ds_load_2addr_b64 v[86:89], v79 offset0:24 offset1:248
	;; [unrolled: 1-line block ×7, first 2 shown]
	s_and_saveexec_b32 s1, vcc_lo
	s_cbranch_execz .LBB0_15
; %bb.14:
	ds_load_b64 v[70:71], v153 offset:8288
	ds_load_b64 v[68:69], v153 offset:12992
	;; [unrolled: 1-line block ×8, first 2 shown]
.LBB0_15:
	s_wait_alu 0xfffe
	s_or_b32 exec_lo, exec_lo, s1
	s_wait_dscnt 0x3
	v_dual_sub_f32 v98, v82, v98 :: v_dual_sub_f32 v99, v83, v99
	s_wait_dscnt 0x1
	v_dual_sub_f32 v102, v86, v102 :: v_dual_sub_f32 v103, v87, v103
	v_dual_sub_f32 v90, v74, v90 :: v_dual_sub_f32 v91, v75, v91
	s_wait_dscnt 0x0
	v_dual_sub_f32 v94, v78, v94 :: v_dual_sub_f32 v95, v79, v95
	v_fma_f32 v82, v82, 2.0, -v98
	v_fma_f32 v83, v83, 2.0, -v99
	;; [unrolled: 1-line block ×8, first 2 shown]
	v_dual_add_f32 v103, v98, v103 :: v_dual_sub_f32 v102, v99, v102
	v_dual_add_f32 v95, v90, v95 :: v_dual_sub_f32 v94, v91, v94
	v_dual_sub_f32 v86, v82, v86 :: v_dual_sub_f32 v87, v83, v87
	s_delay_alu instid0(VALU_DEP_3) | instskip(SKIP_1) | instid1(VALU_DEP_4)
	v_fma_f32 v98, v98, 2.0, -v103
	v_dual_sub_f32 v78, v74, v78 :: v_dual_sub_f32 v79, v75, v79
	v_fma_f32 v90, v90, 2.0, -v95
	s_delay_alu instid0(VALU_DEP_4)
	v_fma_f32 v82, v82, 2.0, -v86
	v_fma_f32 v83, v83, 2.0, -v87
	;; [unrolled: 1-line block ×6, first 2 shown]
	v_fmamk_f32 v171, v90, 0xbf3504f3, v98
	v_dual_fmamk_f32 v179, v95, 0x3f3504f3, v103 :: v_dual_fmamk_f32 v180, v94, 0x3f3504f3, v102
	s_delay_alu instid0(VALU_DEP_3) | instskip(SKIP_1) | instid1(VALU_DEP_4)
	v_dual_sub_f32 v169, v82, v74 :: v_dual_sub_f32 v170, v83, v75
	v_fmamk_f32 v172, v91, 0xbf3504f3, v99
	v_dual_fmac_f32 v171, 0x3f3504f3, v91 :: v_dual_sub_f32 v178, v87, v78
	s_delay_alu instid0(VALU_DEP_4)
	v_dual_sub_f32 v74, v84, v100 :: v_dual_fmac_f32 v179, 0x3f3504f3, v94
	v_dual_fmac_f32 v180, 0xbf3504f3, v95 :: v_dual_sub_f32 v75, v85, v101
	v_dual_sub_f32 v78, v88, v104 :: v_dual_sub_f32 v91, v81, v97
	v_fma_f32 v173, v82, 2.0, -v169
	v_dual_fmac_f32 v172, 0xbf3504f3, v90 :: v_dual_add_f32 v177, v86, v79
	v_fma_f32 v174, v83, 2.0, -v170
	v_fma_f32 v79, v84, 2.0, -v74
	v_dual_sub_f32 v82, v89, v105 :: v_dual_sub_f32 v83, v76, v92
	v_fma_f32 v84, v85, 2.0, -v75
	v_fma_f32 v85, v88, 2.0, -v78
	v_dual_sub_f32 v88, v77, v93 :: v_dual_sub_f32 v105, v75, v78
	v_sub_f32_e32 v90, v80, v96
	v_fma_f32 v89, v89, 2.0, -v82
	s_delay_alu instid0(VALU_DEP_4)
	v_sub_f32_e32 v85, v79, v85
	v_add_f32_e32 v78, v83, v91
	v_fma_f32 v76, v76, 2.0, -v83
	v_sub_f32_e32 v181, v88, v90
	v_fma_f32 v77, v77, 2.0, -v88
	v_fma_f32 v80, v80, 2.0, -v90
	v_fma_f32 v81, v81, 2.0, -v91
	v_fma_f32 v75, v75, 2.0, -v105
	v_sub_f32_e32 v104, v84, v89
	v_fma_f32 v89, v88, 2.0, -v181
	s_delay_alu instid0(VALU_DEP_4) | instskip(SKIP_2) | instid1(VALU_DEP_4)
	v_dual_add_f32 v82, v74, v82 :: v_dual_sub_f32 v81, v77, v81
	v_fma_f32 v83, v83, 2.0, -v78
	v_fma_f32 v79, v79, 2.0, -v85
	v_dual_fmamk_f32 v93, v89, 0xbf3504f3, v75 :: v_dual_sub_f32 v80, v76, v80
	v_fma_f32 v84, v84, 2.0, -v104
	v_fma_f32 v74, v74, 2.0, -v82
	;; [unrolled: 1-line block ×3, first 2 shown]
	s_delay_alu instid0(VALU_DEP_4) | instskip(SKIP_2) | instid1(VALU_DEP_4)
	v_fmac_f32_e32 v93, 0xbf3504f3, v83
	v_fma_f32 v76, v76, 2.0, -v80
	v_fma_f32 v175, v98, 2.0, -v171
	v_dual_fmamk_f32 v92, v83, 0xbf3504f3, v74 :: v_dual_sub_f32 v91, v84, v77
	v_dual_fmamk_f32 v100, v78, 0x3f3504f3, v82 :: v_dual_sub_f32 v73, v152, v73
	s_delay_alu instid0(VALU_DEP_4)
	v_dual_sub_f32 v90, v79, v76 :: v_dual_fmamk_f32 v101, v181, 0x3f3504f3, v105
	v_add_f32_e32 v98, v85, v81
	v_dual_sub_f32 v72, v151, v72 :: v_dual_sub_f32 v83, v70, v145
	v_fmac_f32_e32 v92, 0x3f3504f3, v89
	v_fma_f32 v89, v102, 2.0, -v180
	v_fma_f32 v95, v84, 2.0, -v91
	v_fmac_f32_e32 v100, 0x3f3504f3, v181
	v_fmac_f32_e32 v101, 0xbf3504f3, v78
	v_fma_f32 v102, v85, 2.0, -v98
	v_sub_f32_e32 v85, v149, v106
	v_fma_f32 v70, v70, 2.0, -v83
	v_sub_f32_e32 v84, v71, v146
	v_sub_f32_e32 v78, v69, v148
	v_fma_f32 v176, v99, 2.0, -v172
	v_fma_f32 v94, v79, 2.0, -v90
	v_sub_f32_e32 v99, v104, v80
	v_fma_f32 v79, v152, 2.0, -v73
	v_fma_f32 v69, v69, 2.0, -v78
	v_fma_f32 v88, v103, 2.0, -v179
	v_fma_f32 v96, v74, 2.0, -v92
	v_fma_f32 v103, v104, 2.0, -v99
	v_fma_f32 v104, v82, 2.0, -v100
	v_dual_sub_f32 v74, v68, v147 :: v_dual_sub_f32 v77, v79, v69
	v_sub_f32_e32 v82, v150, v107
	v_fma_f32 v97, v75, 2.0, -v93
	v_fma_f32 v75, v151, 2.0, -v72
	s_delay_alu instid0(VALU_DEP_4)
	v_sub_f32_e32 v81, v73, v74
	v_fma_f32 v68, v68, 2.0, -v74
	v_add_f32_e32 v106, v82, v83
	v_fma_f32 v69, v150, 2.0, -v82
	v_fma_f32 v79, v79, 2.0, -v77
	;; [unrolled: 1-line block ×6, first 2 shown]
	v_sub_f32_e32 v76, v75, v68
	v_fma_f32 v68, v149, 2.0, -v85
	v_fma_f32 v105, v105, 2.0, -v101
	global_wb scope:SCOPE_SE
	s_barrier_signal -1
	s_barrier_wait -1
	v_sub_f32_e32 v107, v70, v68
	v_fma_f32 v71, v71, 2.0, -v84
	v_dual_sub_f32 v85, v84, v85 :: v_dual_add_f32 v80, v78, v72
	global_inv scope:SCOPE_SE
	v_fma_f32 v68, v70, 2.0, -v107
	ds_store_b128 v158, v[173:176]
	ds_store_b128 v158, v[86:89] offset:16
	ds_store_b128 v158, v[169:172] offset:32
	;; [unrolled: 1-line block ×3, first 2 shown]
	ds_store_b128 v159, v[94:97]
	ds_store_b128 v159, v[102:105] offset:16
	ds_store_b128 v159, v[90:93] offset:32
	;; [unrolled: 1-line block ×3, first 2 shown]
	v_fma_f32 v73, v84, 2.0, -v85
	v_fma_f32 v82, v72, 2.0, -v80
	v_sub_f32_e32 v72, v71, v69
	s_delay_alu instid0(VALU_DEP_1) | instskip(NEXT) | instid1(VALU_DEP_4)
	v_fma_f32 v69, v71, 2.0, -v72
	v_fmamk_f32 v71, v73, 0xbf3504f3, v83
	v_fma_f32 v78, v75, 2.0, -v76
	v_fmamk_f32 v70, v145, 0xbf3504f3, v82
	v_fmamk_f32 v75, v85, 0x3f3504f3, v81
	v_sub_f32_e32 v69, v79, v69
	v_fmac_f32_e32 v71, 0xbf3504f3, v145
	v_fmamk_f32 v74, v106, 0x3f3504f3, v80
	s_delay_alu instid0(VALU_DEP_4) | instskip(SKIP_2) | instid1(VALU_DEP_4)
	v_dual_sub_f32 v68, v78, v68 :: v_dual_fmac_f32 v75, 0xbf3504f3, v106
	v_dual_fmac_f32 v70, 0x3f3504f3, v73 :: v_dual_sub_f32 v73, v77, v107
	v_add_f32_e32 v72, v72, v76
	v_fmac_f32_e32 v74, 0x3f3504f3, v85
	s_and_saveexec_b32 s1, vcc_lo
	s_cbranch_execz .LBB0_17
; %bb.16:
	v_fma_f32 v86, v81, 2.0, -v75
	s_delay_alu instid0(VALU_DEP_2)
	v_fma_f32 v85, v80, 2.0, -v74
	v_fma_f32 v81, v83, 2.0, -v71
	v_fma_f32 v80, v82, 2.0, -v70
	v_fma_f32 v79, v79, 2.0, -v69
	v_fma_f32 v78, v78, 2.0, -v68
	v_fma_f32 v84, v77, 2.0, -v73
	v_fma_f32 v83, v76, 2.0, -v72
	ds_store_b128 v157, v[78:81]
	ds_store_b128 v157, v[83:86] offset:16
	ds_store_b128 v157, v[68:71] offset:32
	;; [unrolled: 1-line block ×3, first 2 shown]
.LBB0_17:
	s_wait_alu 0xfffe
	s_or_b32 exec_lo, exec_lo, s1
	v_add_nc_u32_e32 v76, 0x2400, v153
	v_add_nc_u32_e32 v77, 0x4900, v153
	global_wb scope:SCOPE_SE
	s_wait_dscnt 0x0
	s_barrier_signal -1
	s_barrier_wait -1
	global_inv scope:SCOPE_SE
	ds_load_2addr_b64 v[80:83], v153 offset1:224
	ds_load_2addr_b64 v[100:103], v76 offset0:24 offset1:248
	ds_load_2addr_b64 v[96:99], v77 offset0:16 offset1:240
	v_add_nc_u32_e32 v76, 0x6e00, v153
	v_add_nc_u32_e32 v77, 0xe00, v153
	;; [unrolled: 1-line block ×5, first 2 shown]
	ds_load_2addr_b64 v[104:107], v76 offset0:8 offset1:232
	ds_load_2addr_b64 v[76:79], v77 offset1:224
	ds_load_2addr_b64 v[92:95], v84 offset0:24 offset1:248
	ds_load_2addr_b64 v[88:91], v85 offset0:16 offset1:240
	;; [unrolled: 1-line block ×3, first 2 shown]
	ds_load_b64 v[151:152], v153 offset:16576
	ds_load_b64 v[149:150], v153 offset:25984
	ds_load_b64 v[145:146], v153 offset:7168
	ds_load_b64 v[147:148], v153 offset:35392
	s_and_saveexec_b32 s1, s0
	s_cbranch_execz .LBB0_19
; %bb.18:
	ds_load_b64 v[70:71], v153 offset:18368
	ds_load_b64 v[72:73], v153 offset:27776
	;; [unrolled: 1-line block ×4, first 2 shown]
.LBB0_19:
	s_wait_alu 0xfffe
	s_or_b32 exec_lo, exec_lo, s1
	s_wait_dscnt 0xa
	v_mul_f32_e32 v157, v1, v101
	s_wait_dscnt 0x9
	v_dual_mul_f32 v158, v1, v100 :: v_dual_mul_f32 v159, v3, v97
	global_wb scope:SCOPE_SE
	s_wait_dscnt 0x0
	s_barrier_signal -1
	v_mul_f32_e32 v169, v1, v103
	v_dual_mul_f32 v170, v1, v102 :: v_dual_fmac_f32 v159, v2, v96
	v_mul_f32_e32 v96, v3, v96
	v_fmac_f32_e32 v157, v0, v100
	v_fma_f32 v100, v0, v101, -v158
	v_mul_f32_e32 v158, v144, v104
	v_mul_f32_e32 v101, v144, v105
	v_fmac_f32_e32 v169, v0, v102
	v_fma_f32 v102, v0, v103, -v170
	v_mul_f32_e32 v170, v1, v93
	v_fma_f32 v96, v2, v97, -v96
	v_fma_f32 v97, v143, v105, -v158
	v_dual_mul_f32 v103, v3, v99 :: v_dual_mul_f32 v158, v144, v106
	s_delay_alu instid0(VALU_DEP_4) | instskip(SKIP_4) | instid1(VALU_DEP_4)
	v_fmac_f32_e32 v170, v0, v92
	v_mul_f32_e32 v92, v1, v92
	v_fmac_f32_e32 v101, v143, v104
	v_dual_mul_f32 v104, v3, v98 :: v_dual_mul_f32 v105, v144, v107
	v_fmac_f32_e32 v103, v2, v98
	v_fma_f32 v171, v0, v93, -v92
	v_mul_f32_e32 v173, v144, v87
	s_delay_alu instid0(VALU_DEP_4)
	v_fma_f32 v98, v2, v99, -v104
	v_fma_f32 v99, v143, v107, -v158
	v_mul_f32_e32 v104, v3, v89
	v_mul_f32_e32 v107, v144, v85
	v_dual_fmac_f32 v105, v143, v106 :: v_dual_mul_f32 v158, v144, v84
	v_mul_f32_e32 v106, v3, v88
	s_delay_alu instid0(VALU_DEP_4) | instskip(NEXT) | instid1(VALU_DEP_4)
	v_fmac_f32_e32 v104, v2, v88
	v_dual_fmac_f32 v107, v143, v84 :: v_dual_mul_f32 v84, v1, v94
	v_mul_f32_e32 v176, v1, v152
	s_delay_alu instid0(VALU_DEP_4) | instskip(SKIP_4) | instid1(VALU_DEP_3)
	v_fma_f32 v93, v2, v89, -v106
	v_fma_f32 v106, v143, v85, -v158
	v_dual_mul_f32 v158, v1, v95 :: v_dual_mul_f32 v85, v3, v90
	v_fma_f32 v174, v0, v95, -v84
	v_dual_mul_f32 v84, v144, v86 :: v_dual_sub_f32 v89, v81, v96
	v_fmac_f32_e32 v158, v0, v94
	s_delay_alu instid0(VALU_DEP_4)
	v_fma_f32 v175, v2, v91, -v85
	v_mul_f32_e32 v85, v1, v151
	v_dual_mul_f32 v177, v3, v150 :: v_dual_sub_f32 v88, v80, v159
	v_mul_f32_e32 v172, v3, v91
	v_fma_f32 v178, v143, v87, -v84
	v_dual_mul_f32 v84, v144, v147 :: v_dual_sub_f32 v95, v83, v98
	v_sub_f32_e32 v96, v169, v105
	v_dual_sub_f32 v92, v102, v99 :: v_dual_fmac_f32 v173, v143, v86
	v_fmac_f32_e32 v176, v0, v151
	v_fma_f32 v151, v0, v152, -v85
	v_fmac_f32_e32 v177, v2, v149
	v_dual_fmac_f32 v172, v2, v90 :: v_dual_sub_f32 v85, v157, v101
	v_sub_f32_e32 v87, v100, v97
	v_fma_f32 v97, v83, 2.0, -v95
	v_fma_f32 v98, v102, 2.0, -v92
	v_mul_f32_e32 v86, v3, v149
	v_dual_sub_f32 v94, v82, v103 :: v_dual_sub_f32 v101, v77, v93
	v_fma_f32 v90, v81, 2.0, -v89
	v_fma_f32 v81, v100, 2.0, -v87
	s_delay_alu instid0(VALU_DEP_4) | instskip(SKIP_2) | instid1(VALU_DEP_4)
	v_fma_f32 v149, v2, v150, -v86
	v_fma_f32 v86, v80, 2.0, -v88
	v_fma_f32 v80, v157, 2.0, -v85
	v_dual_mul_f32 v150, v144, v148 :: v_dual_sub_f32 v81, v90, v81
	v_fma_f32 v91, v82, 2.0, -v94
	v_fma_f32 v83, v169, 2.0, -v96
	s_delay_alu instid0(VALU_DEP_4) | instskip(NEXT) | instid1(VALU_DEP_4)
	v_dual_sub_f32 v80, v86, v80 :: v_dual_sub_f32 v85, v89, v85
	v_fmac_f32_e32 v150, v143, v147
	v_fma_f32 v147, v143, v148, -v84
	v_fma_f32 v103, v77, 2.0, -v101
	s_delay_alu instid0(VALU_DEP_4)
	v_fma_f32 v82, v86, 2.0, -v80
	v_add_f32_e32 v84, v88, v87
	v_dual_sub_f32 v86, v91, v83 :: v_dual_sub_f32 v105, v158, v173
	v_sub_f32_e32 v87, v97, v98
	v_fma_f32 v83, v90, 2.0, -v81
	v_sub_f32_e32 v100, v76, v104
	s_delay_alu instid0(VALU_DEP_4)
	v_fma_f32 v90, v91, 2.0, -v86
	v_dual_sub_f32 v104, v174, v178 :: v_dual_sub_f32 v147, v151, v147
	v_fma_f32 v91, v97, 2.0, -v87
	v_sub_f32_e32 v97, v170, v107
	v_sub_f32_e32 v107, v79, v175
	v_fma_f32 v99, v76, 2.0, -v100
	v_sub_f32_e32 v93, v95, v96
	v_add_f32_e32 v92, v94, v92
	v_fma_f32 v102, v170, 2.0, -v97
	v_fma_f32 v148, v79, 2.0, -v107
	;; [unrolled: 1-line block ×3, first 2 shown]
	v_sub_f32_e32 v98, v171, v106
	v_fma_f32 v76, v94, 2.0, -v92
	v_dual_sub_f32 v94, v99, v102 :: v_dual_sub_f32 v157, v146, v149
	v_dual_sub_f32 v106, v78, v172 :: v_dual_sub_f32 v149, v176, v150
	v_sub_f32_e32 v79, v148, v79
	v_fma_f32 v96, v171, 2.0, -v98
	v_sub_f32_e32 v152, v145, v177
	v_fma_f32 v77, v95, 2.0, -v93
	v_fma_f32 v102, v78, 2.0, -v106
	;; [unrolled: 1-line block ×3, first 2 shown]
	v_sub_f32_e32 v95, v103, v96
	v_fma_f32 v150, v145, 2.0, -v152
	v_fma_f32 v158, v146, 2.0, -v157
	;; [unrolled: 1-line block ×5, first 2 shown]
	v_dual_add_f32 v98, v100, v98 :: v_dual_sub_f32 v105, v107, v105
	v_sub_f32_e32 v99, v101, v97
	v_fma_f32 v88, v88, 2.0, -v84
	v_fma_f32 v89, v89, 2.0, -v85
	v_dual_sub_f32 v78, v102, v78 :: v_dual_add_f32 v147, v152, v147
	v_fma_f32 v97, v103, 2.0, -v95
	v_add_f32_e32 v104, v106, v104
	v_fma_f32 v103, v148, 2.0, -v79
	v_sub_f32_e32 v145, v150, v145
	v_sub_f32_e32 v146, v158, v146
	;; [unrolled: 1-line block ×3, first 2 shown]
	v_fma_f32 v100, v100, 2.0, -v98
	v_fma_f32 v101, v101, 2.0, -v99
	;; [unrolled: 1-line block ×9, first 2 shown]
	s_barrier_wait -1
	global_inv scope:SCOPE_SE
	ds_store_2addr_b64 v164, v[82:83], v[88:89] offset1:8
	ds_store_2addr_b64 v164, v[80:81], v[84:85] offset0:16 offset1:24
	ds_store_2addr_b64 v163, v[90:91], v[76:77] offset1:8
	ds_store_2addr_b64 v163, v[86:87], v[92:93] offset0:16 offset1:24
	;; [unrolled: 2-line block ×5, first 2 shown]
	s_and_saveexec_b32 s1, s0
	s_cbranch_execz .LBB0_21
; %bb.20:
	v_dual_mul_f32 v76, v3, v72 :: v_dual_mul_f32 v77, v1, v71
	v_dual_mul_f32 v3, v3, v73 :: v_dual_mul_f32 v78, v144, v74
	v_mul_f32_e32 v1, v1, v70
	s_delay_alu instid0(VALU_DEP_3)
	v_fma_f32 v73, v2, v73, -v76
	v_mul_f32_e32 v76, v144, v75
	v_fmac_f32_e32 v77, v0, v70
	v_fmac_f32_e32 v3, v2, v72
	v_fma_f32 v0, v0, v71, -v1
	v_fma_f32 v1, v143, v75, -v78
	v_fmac_f32_e32 v76, v143, v74
	s_delay_alu instid0(VALU_DEP_4) | instskip(SKIP_1) | instid1(VALU_DEP_3)
	v_dual_sub_f32 v70, v69, v73 :: v_dual_sub_f32 v71, v68, v3
	v_and_or_b32 v74, 0x13e0, v156, v155
	v_dual_sub_f32 v2, v0, v1 :: v_dual_sub_f32 v1, v77, v76
	s_delay_alu instid0(VALU_DEP_3) | instskip(NEXT) | instid1(VALU_DEP_4)
	v_fma_f32 v72, v69, 2.0, -v70
	v_fma_f32 v73, v68, 2.0, -v71
	s_delay_alu instid0(VALU_DEP_3) | instskip(NEXT) | instid1(VALU_DEP_4)
	v_fma_f32 v3, v0, 2.0, -v2
	v_fma_f32 v68, v77, 2.0, -v1
	v_dual_sub_f32 v1, v70, v1 :: v_dual_add_f32 v0, v71, v2
	s_delay_alu instid0(VALU_DEP_2) | instskip(NEXT) | instid1(VALU_DEP_2)
	v_dual_sub_f32 v3, v72, v3 :: v_dual_sub_f32 v2, v73, v68
	v_fma_f32 v69, v70, 2.0, -v1
	s_delay_alu instid0(VALU_DEP_3) | instskip(NEXT) | instid1(VALU_DEP_3)
	v_fma_f32 v68, v71, 2.0, -v0
	v_fma_f32 v71, v72, 2.0, -v3
	v_lshlrev_b32_e32 v72, 3, v74
	v_fma_f32 v70, v73, 2.0, -v2
	ds_store_2addr_b64 v72, v[70:71], v[68:69] offset1:8
	ds_store_2addr_b64 v72, v[2:3], v[0:1] offset0:16 offset1:24
.LBB0_21:
	s_wait_alu 0xfffe
	s_or_b32 exec_lo, exec_lo, s1
	v_add_nc_u32_e32 v1, 0xe00, v153
	v_add_nc_u32_e32 v71, 0x2a00, v153
	;; [unrolled: 1-line block ×3, first 2 shown]
	global_wb scope:SCOPE_SE
	s_wait_dscnt 0x0
	s_barrier_signal -1
	s_barrier_wait -1
	global_inv scope:SCOPE_SE
	ds_load_2addr_b64 v[73:76], v1 offset1:224
	ds_load_2addr_b64 v[77:80], v71 offset1:224
	;; [unrolled: 1-line block ×4, first 2 shown]
	v_add_nc_u32_e32 v0, 0x5400, v153
	v_add_nc_u32_e32 v72, 0x6200, v153
	;; [unrolled: 1-line block ×3, first 2 shown]
	s_mov_b32 s2, 0x899406f7
	s_mov_b32 s3, 0x3f2bdd2b
	s_wait_dscnt 0x3
	v_mul_f32_e32 v151, v13, v75
	ds_load_2addr_b64 v[89:92], v0 offset1:224
	v_mul_f32_e32 v107, v13, v76
	s_wait_dscnt 0x2
	v_dual_mul_f32 v155, v15, v77 :: v_dual_mul_f32 v156, v9, v84
	v_add_nc_u32_e32 v2, 0x7e00, v153
	v_add_nc_u32_e32 v3, 0x1c00, v153
	v_dual_mul_f32 v152, v15, v78 :: v_dual_add_nc_u32 v69, 0x4600, v153
	v_mul_f32_e32 v157, v9, v83
	v_fmac_f32_e32 v107, v12, v75
	v_fma_f32 v75, v12, v76, -v151
	v_fma_f32 v76, v14, v78, -v155
	v_fmac_f32_e32 v156, v8, v83
	s_wait_dscnt 0x0
	v_mul_f32_e32 v78, v11, v90
	ds_load_2addr_b64 v[93:96], v72 offset1:224
	ds_load_b64 v[105:106], v153 offset:35840
	ds_load_2addr_b64 v[97:100], v2 offset1:224
	ds_load_2addr_b64 v[101:104], v3 offset1:224
	;; [unrolled: 1-line block ×4, first 2 shown]
	v_fmac_f32_e32 v152, v14, v77
	v_fma_f32 v77, v8, v84, -v157
	global_wb scope:SCOPE_SE
	s_wait_dscnt 0x0
	v_fmac_f32_e32 v78, v10, v89
	s_barrier_signal -1
	s_barrier_wait -1
	global_inv scope:SCOPE_SE
	v_dual_mul_f32 v84, v5, v96 :: v_dual_mul_f32 v83, v11, v89
	v_mul_f32_e32 v151, v5, v95
	s_delay_alu instid0(VALU_DEP_2) | instskip(NEXT) | instid1(VALU_DEP_3)
	v_dual_mul_f32 v155, v7, v98 :: v_dual_fmac_f32 v84, v4, v95
	v_fma_f32 v83, v10, v90, -v83
	s_delay_alu instid0(VALU_DEP_3) | instskip(NEXT) | instid1(VALU_DEP_3)
	v_fma_f32 v89, v4, v96, -v151
	v_fmac_f32_e32 v155, v6, v97
	v_dual_mul_f32 v90, v7, v97 :: v_dual_mul_f32 v95, v13, v102
	v_dual_mul_f32 v96, v13, v101 :: v_dual_mul_f32 v97, v15, v80
	v_mul_f32_e32 v151, v15, v79
	s_delay_alu instid0(VALU_DEP_3) | instskip(NEXT) | instid1(VALU_DEP_3)
	v_fmac_f32_e32 v95, v12, v101
	v_fma_f32 v96, v12, v102, -v96
	s_delay_alu instid0(VALU_DEP_4)
	v_fmac_f32_e32 v97, v14, v79
	v_fma_f32 v90, v6, v98, -v90
	v_mul_f32_e32 v98, v9, v143
	v_fma_f32 v79, v14, v80, -v151
	v_mul_f32_e32 v80, v9, v144
	v_mul_f32_e32 v101, v11, v92
	v_dual_mul_f32 v102, v11, v91 :: v_dual_mul_f32 v151, v5, v148
	v_fma_f32 v98, v8, v144, -v98
	s_delay_alu instid0(VALU_DEP_4) | instskip(NEXT) | instid1(VALU_DEP_4)
	v_fmac_f32_e32 v80, v8, v143
	v_fmac_f32_e32 v101, v10, v91
	s_delay_alu instid0(VALU_DEP_4) | instskip(SKIP_4) | instid1(VALU_DEP_4)
	v_fma_f32 v91, v10, v92, -v102
	v_mul_f32_e32 v102, v7, v100
	v_dual_mul_f32 v143, v7, v99 :: v_dual_mul_f32 v144, v13, v104
	v_mul_f32_e32 v13, v13, v103
	v_mul_f32_e32 v92, v5, v147
	v_fmac_f32_e32 v102, v6, v99
	s_delay_alu instid0(VALU_DEP_4)
	v_fma_f32 v99, v6, v100, -v143
	v_dual_fmac_f32 v144, v12, v103 :: v_dual_mul_f32 v143, v11, v94
	v_fma_f32 v100, v12, v104, -v13
	v_mul_f32_e32 v103, v15, v82
	v_mul_f32_e32 v104, v9, v146
	;; [unrolled: 1-line block ×3, first 2 shown]
	v_dual_fmac_f32 v151, v4, v147 :: v_dual_mul_f32 v12, v15, v81
	s_delay_alu instid0(VALU_DEP_4) | instskip(NEXT) | instid1(VALU_DEP_4)
	v_fmac_f32_e32 v103, v14, v81
	v_fmac_f32_e32 v104, v8, v145
	s_delay_alu instid0(VALU_DEP_4)
	v_fma_f32 v145, v8, v146, -v9
	v_dual_mul_f32 v146, v7, v106 :: v_dual_fmac_f32 v143, v10, v93
	v_dual_mul_f32 v8, v11, v93 :: v_dual_mul_f32 v93, v5, v150
	v_mul_f32_e32 v5, v5, v149
	v_mul_f32_e32 v7, v7, v105
	v_fma_f32 v92, v4, v148, -v92
	v_fma_f32 v147, v14, v82, -v12
	;; [unrolled: 1-line block ×3, first 2 shown]
	v_add_f32_e32 v8, v152, v84
	v_dual_fmac_f32 v93, v4, v149 :: v_dual_sub_f32 v14, v78, v156
	v_fmac_f32_e32 v146, v6, v105
	v_fma_f32 v105, v6, v106, -v7
	v_sub_f32_e32 v6, v107, v155
	v_fma_f32 v148, v4, v150, -v5
	v_add_f32_e32 v5, v75, v90
	v_add_f32_e32 v4, v107, v155
	v_dual_sub_f32 v7, v75, v90 :: v_dual_sub_f32 v10, v152, v84
	v_add_f32_e32 v9, v76, v89
	v_dual_add_f32 v12, v156, v78 :: v_dual_add_f32 v13, v77, v83
	v_sub_f32_e32 v11, v76, v89
	v_sub_f32_e32 v15, v83, v77
	v_add_f32_e32 v75, v8, v4
	v_sub_f32_e32 v77, v8, v4
	v_dual_sub_f32 v81, v4, v12 :: v_dual_sub_f32 v82, v5, v13
	v_add_f32_e32 v4, v14, v10
	v_add_f32_e32 v76, v9, v5
	v_sub_f32_e32 v78, v9, v5
	v_dual_sub_f32 v8, v12, v8 :: v_dual_sub_f32 v83, v14, v10
	v_add_f32_e32 v12, v12, v75
	v_dual_sub_f32 v14, v6, v14 :: v_dual_sub_f32 v9, v13, v9
	v_sub_f32_e32 v84, v15, v11
	v_dual_add_f32 v5, v15, v11 :: v_dual_sub_f32 v10, v10, v6
	v_dual_add_f32 v13, v13, v76 :: v_dual_mul_f32 v76, 0x3f4a47b2, v82
	v_dual_sub_f32 v15, v7, v15 :: v_dual_add_f32 v6, v4, v6
	v_dual_sub_f32 v11, v11, v7 :: v_dual_add_f32 v4, v85, v12
	s_delay_alu instid0(VALU_DEP_4) | instskip(NEXT) | instid1(VALU_DEP_4)
	v_dual_add_f32 v7, v5, v7 :: v_dual_mul_f32 v82, 0x3d64c772, v9
	v_dual_add_f32 v5, v86, v13 :: v_dual_mul_f32 v84, 0x3f08b237, v84
	s_delay_alu instid0(VALU_DEP_3) | instskip(SKIP_2) | instid1(VALU_DEP_4)
	v_fmamk_f32 v12, v12, 0xbf955555, v4
	v_fmamk_f32 v9, v9, 0x3d64c772, v76
	v_fma_f32 v76, 0xbf3bfb3b, v78, -v76
	v_fmamk_f32 v13, v13, 0xbf955555, v5
	v_mul_f32_e32 v75, 0x3f4a47b2, v81
	v_mul_f32_e32 v81, 0x3d64c772, v8
	;; [unrolled: 1-line block ×3, first 2 shown]
	v_dual_mul_f32 v85, 0xbf5ff5aa, v10 :: v_dual_mul_f32 v86, 0xbf5ff5aa, v11
	s_delay_alu instid0(VALU_DEP_4) | instskip(NEXT) | instid1(VALU_DEP_4)
	v_fmamk_f32 v8, v8, 0x3d64c772, v75
	v_fma_f32 v81, 0x3f3bfb3b, v77, -v81
	v_fma_f32 v82, 0x3f3bfb3b, v78, -v82
	;; [unrolled: 1-line block ×3, first 2 shown]
	v_fmamk_f32 v78, v15, 0xbeae86e6, v84
	v_fma_f32 v84, 0xbf5ff5aa, v11, -v84
	v_dual_add_f32 v76, v76, v13 :: v_dual_fmamk_f32 v77, v14, 0xbeae86e6, v83
	v_fma_f32 v83, 0xbf5ff5aa, v10, -v83
	v_fma_f32 v85, 0x3eae86e6, v14, -v85
	;; [unrolled: 1-line block ×3, first 2 shown]
	v_add_f32_e32 v86, v8, v12
	v_dual_add_f32 v15, v81, v12 :: v_dual_fmac_f32 v78, 0xbee1c552, v7
	v_dual_add_f32 v81, v82, v13 :: v_dual_fmac_f32 v84, 0xbee1c552, v7
	v_add_f32_e32 v75, v75, v12
	v_dual_fmac_f32 v83, 0xbee1c552, v6 :: v_dual_fmac_f32 v14, 0xbee1c552, v7
	v_sub_f32_e32 v90, v91, v98
	s_delay_alu instid0(VALU_DEP_4) | instskip(SKIP_1) | instid1(VALU_DEP_4)
	v_sub_f32_e32 v10, v15, v84
	v_dual_add_f32 v12, v84, v15 :: v_dual_fmac_f32 v77, 0xbee1c552, v6
	v_dual_add_f32 v8, v14, v75 :: v_dual_fmac_f32 v85, 0xbee1c552, v6
	v_dual_add_f32 v6, v78, v86 :: v_dual_add_f32 v89, v9, v13
	v_add_f32_e32 v11, v83, v81
	s_delay_alu instid0(VALU_DEP_3) | instskip(NEXT) | instid1(VALU_DEP_3)
	v_dual_sub_f32 v14, v75, v14 :: v_dual_sub_f32 v9, v76, v85
	v_dual_add_f32 v84, v79, v92 :: v_dual_sub_f32 v7, v89, v77
	v_dual_sub_f32 v75, v86, v78 :: v_dual_add_f32 v78, v96, v99
	v_dual_sub_f32 v13, v81, v83 :: v_dual_add_f32 v86, v80, v101
	v_dual_add_f32 v15, v85, v76 :: v_dual_sub_f32 v82, v96, v99
	v_add_f32_e32 v76, v77, v89
	v_add_f32_e32 v83, v97, v151
	v_sub_f32_e32 v85, v97, v151
	v_dual_sub_f32 v79, v79, v92 :: v_dual_sub_f32 v96, v84, v78
	v_dual_sub_f32 v80, v101, v80 :: v_dual_add_f32 v89, v98, v91
	v_add_f32_e32 v77, v95, v102
	v_sub_f32_e32 v81, v95, v102
	v_add_f32_e32 v92, v84, v78
	v_sub_f32_e32 v102, v143, v104
	v_sub_f32_e32 v84, v89, v84
	;; [unrolled: 1-line block ×3, first 2 shown]
	v_dual_add_f32 v91, v83, v77 :: v_dual_add_f32 v78, v90, v79
	v_sub_f32_e32 v95, v83, v77
	v_sub_f32_e32 v97, v77, v86
	v_add_f32_e32 v77, v80, v85
	v_sub_f32_e32 v99, v80, v85
	v_dual_sub_f32 v101, v90, v79 :: v_dual_sub_f32 v80, v81, v80
	v_add_f32_e32 v89, v89, v92
	v_sub_f32_e32 v83, v86, v83
	v_sub_f32_e32 v90, v82, v90
	;; [unrolled: 1-line block ×3, first 2 shown]
	v_add_f32_e32 v82, v78, v82
	v_add_f32_e32 v78, v88, v89
	v_mul_f32_e32 v92, 0x3d64c772, v84
	v_add_f32_e32 v86, v86, v91
	v_mul_f32_e32 v88, 0x3f4a47b2, v98
	v_mul_f32_e32 v98, 0x3f08b237, v101
	v_fmamk_f32 v89, v89, 0xbf955555, v78
	v_fma_f32 v92, 0x3f3bfb3b, v96, -v92
	v_sub_f32_e32 v85, v85, v81
	v_add_f32_e32 v81, v77, v81
	v_dual_add_f32 v77, v87, v86 :: v_dual_fmamk_f32 v84, v84, 0x3d64c772, v88
	s_delay_alu instid0(VALU_DEP_4)
	v_dual_add_f32 v92, v92, v89 :: v_dual_mul_f32 v101, 0xbf5ff5aa, v79
	v_fma_f32 v88, 0xbf3bfb3b, v96, -v88
	v_fmamk_f32 v96, v90, 0xbeae86e6, v98
	v_mul_f32_e32 v91, 0x3d64c772, v83
	v_fmamk_f32 v86, v86, 0xbf955555, v77
	v_fma_f32 v90, 0x3eae86e6, v90, -v101
	v_add_f32_e32 v88, v88, v89
	v_dual_add_f32 v101, v84, v89 :: v_dual_fmac_f32 v96, 0xbee1c552, v82
	v_mul_f32_e32 v87, 0x3f4a47b2, v97
	v_mul_f32_e32 v97, 0x3f08b237, v99
	v_fma_f32 v91, 0x3f3bfb3b, v95, -v91
	v_fmac_f32_e32 v90, 0xbee1c552, v82
	s_delay_alu instid0(VALU_DEP_4) | instskip(SKIP_4) | instid1(VALU_DEP_4)
	v_fmamk_f32 v83, v83, 0x3d64c772, v87
	v_fma_f32 v87, 0xbf3bfb3b, v95, -v87
	v_fmamk_f32 v95, v80, 0xbeae86e6, v97
	v_fma_f32 v97, 0xbf5ff5aa, v85, -v97
	v_add_f32_e32 v91, v91, v86
	v_add_f32_e32 v87, v87, v86
	s_delay_alu instid0(VALU_DEP_3) | instskip(SKIP_2) | instid1(VALU_DEP_3)
	v_fmac_f32_e32 v97, 0xbee1c552, v81
	v_mul_f32_e32 v99, 0xbf5ff5aa, v85
	v_fma_f32 v85, 0xbf5ff5aa, v79, -v98
	v_add_f32_e32 v84, v97, v92
	s_delay_alu instid0(VALU_DEP_3) | instskip(SKIP_1) | instid1(VALU_DEP_4)
	v_fma_f32 v98, 0x3eae86e6, v80, -v99
	v_add_f32_e32 v99, v83, v86
	v_dual_fmac_f32 v85, 0xbee1c552, v82 :: v_dual_sub_f32 v86, v92, v97
	v_add_f32_e32 v92, v100, v105
	s_delay_alu instid0(VALU_DEP_3) | instskip(NEXT) | instid1(VALU_DEP_1)
	v_dual_fmac_f32 v98, 0xbee1c552, v81 :: v_dual_add_f32 v79, v96, v99
	v_sub_f32_e32 v82, v88, v98
	v_add_f32_e32 v88, v98, v88
	v_dual_add_f32 v98, v147, v148 :: v_dual_fmac_f32 v95, 0xbee1c552, v81
	v_dual_sub_f32 v89, v99, v96 :: v_dual_sub_f32 v96, v100, v105
	v_dual_add_f32 v97, v103, v93 :: v_dual_add_f32 v100, v104, v143
	s_delay_alu instid0(VALU_DEP_3)
	v_sub_f32_e32 v80, v101, v95
	v_add_f32_e32 v81, v90, v87
	v_sub_f32_e32 v93, v103, v93
	v_sub_f32_e32 v87, v87, v90
	v_dual_add_f32 v90, v95, v101 :: v_dual_add_f32 v101, v145, v94
	v_dual_sub_f32 v83, v91, v85 :: v_dual_add_f32 v104, v98, v92
	v_dual_add_f32 v85, v85, v91 :: v_dual_sub_f32 v106, v98, v92
	s_delay_alu instid0(VALU_DEP_3) | instskip(SKIP_1) | instid1(VALU_DEP_2)
	v_sub_f32_e32 v92, v92, v101
	v_sub_f32_e32 v94, v94, v145
	v_mul_f32_e32 v92, 0x3f4a47b2, v92
	v_sub_f32_e32 v98, v101, v98
	v_add_f32_e32 v101, v101, v104
	v_sub_f32_e32 v95, v144, v146
	s_delay_alu instid0(VALU_DEP_3) | instskip(NEXT) | instid1(VALU_DEP_3)
	v_dual_sub_f32 v99, v147, v148 :: v_dual_mul_f32 v104, 0x3d64c772, v98
	v_add_f32_e32 v74, v74, v101
	v_fmamk_f32 v98, v98, 0x3d64c772, v92
	s_delay_alu instid0(VALU_DEP_3)
	v_sub_f32_e32 v145, v94, v99
	v_fma_f32 v92, 0xbf3bfb3b, v106, -v92
	v_fma_f32 v104, 0x3f3bfb3b, v106, -v104
	v_fmamk_f32 v101, v101, 0xbf955555, v74
	v_add_f32_e32 v143, v94, v99
	v_add_f32_e32 v91, v144, v146
	v_dual_sub_f32 v94, v96, v94 :: v_dual_sub_f32 v99, v99, v96
	s_delay_alu instid0(VALU_DEP_2) | instskip(SKIP_3) | instid1(VALU_DEP_4)
	v_dual_add_f32 v96, v143, v96 :: v_dual_add_f32 v103, v97, v91
	v_sub_f32_e32 v105, v97, v91
	v_sub_f32_e32 v91, v91, v100
	;; [unrolled: 1-line block ×3, first 2 shown]
	v_add_f32_e32 v100, v100, v103
	v_sub_f32_e32 v144, v102, v93
	s_delay_alu instid0(VALU_DEP_3) | instskip(NEXT) | instid1(VALU_DEP_3)
	v_mul_f32_e32 v103, 0x3d64c772, v97
	v_add_f32_e32 v73, v73, v100
	s_delay_alu instid0(VALU_DEP_1) | instskip(SKIP_1) | instid1(VALU_DEP_1)
	v_fmamk_f32 v100, v100, 0xbf955555, v73
	v_mul_f32_e32 v91, 0x3f4a47b2, v91
	v_fmamk_f32 v97, v97, 0x3d64c772, v91
	v_add_f32_e32 v107, v102, v93
	v_dual_sub_f32 v93, v93, v95 :: v_dual_sub_f32 v102, v95, v102
	s_delay_alu instid0(VALU_DEP_2) | instskip(SKIP_1) | instid1(VALU_DEP_3)
	v_add_f32_e32 v95, v107, v95
	v_mul_f32_e32 v107, 0x3f08b237, v144
	v_mul_f32_e32 v144, 0xbf5ff5aa, v93
	v_fma_f32 v103, 0x3f3bfb3b, v105, -v103
	v_fma_f32 v91, 0xbf3bfb3b, v105, -v91
	s_delay_alu instid0(VALU_DEP_4) | instskip(NEXT) | instid1(VALU_DEP_4)
	v_fmamk_f32 v105, v102, 0xbeae86e6, v107
	v_fma_f32 v102, 0x3eae86e6, v102, -v144
	v_add_f32_e32 v144, v97, v100
	v_add_f32_e32 v97, v103, v100
	v_dual_add_f32 v100, v91, v100 :: v_dual_mul_f32 v143, 0x3f08b237, v145
	v_mul_f32_e32 v145, 0xbf5ff5aa, v99
	s_delay_alu instid0(VALU_DEP_2) | instskip(SKIP_2) | instid1(VALU_DEP_4)
	v_fmamk_f32 v106, v94, 0xbeae86e6, v143
	v_fma_f32 v107, 0xbf5ff5aa, v93, -v107
	v_fma_f32 v99, 0xbf5ff5aa, v99, -v143
	;; [unrolled: 1-line block ×3, first 2 shown]
	v_add_f32_e32 v145, v98, v101
	v_add_f32_e32 v98, v104, v101
	v_dual_add_f32 v101, v92, v101 :: v_dual_fmac_f32 v106, 0xbee1c552, v96
	v_fmac_f32_e32 v105, 0xbee1c552, v95
	v_fmac_f32_e32 v107, 0xbee1c552, v95
	v_dual_fmac_f32 v143, 0xbee1c552, v96 :: v_dual_fmac_f32 v102, 0xbee1c552, v95
	v_fmac_f32_e32 v99, 0xbee1c552, v96
	s_delay_alu instid0(VALU_DEP_4) | instskip(NEXT) | instid1(VALU_DEP_3)
	v_dual_add_f32 v91, v106, v144 :: v_dual_sub_f32 v92, v145, v105
	v_dual_add_f32 v93, v143, v100 :: v_dual_sub_f32 v94, v101, v102
	s_delay_alu instid0(VALU_DEP_3)
	v_dual_sub_f32 v95, v97, v99 :: v_dual_add_f32 v96, v107, v98
	v_dual_add_f32 v97, v99, v97 :: v_dual_sub_f32 v98, v98, v107
	v_dual_sub_f32 v99, v100, v143 :: v_dual_add_f32 v100, v102, v101
	v_dual_sub_f32 v101, v144, v106 :: v_dual_add_f32 v102, v105, v145
	ds_store_2addr_b64 v167, v[4:5], v[6:7] offset1:32
	ds_store_2addr_b64 v167, v[8:9], v[10:11] offset0:64 offset1:96
	ds_store_2addr_b64 v167, v[12:13], v[14:15] offset0:128 offset1:160
	ds_store_b64 v167, v[75:76] offset:1536
	ds_store_2addr_b64 v166, v[77:78], v[79:80] offset1:32
	ds_store_2addr_b64 v166, v[81:82], v[83:84] offset0:64 offset1:96
	ds_store_2addr_b64 v166, v[85:86], v[87:88] offset0:128 offset1:160
	ds_store_b64 v166, v[89:90] offset:1536
	ds_store_2addr_b64 v165, v[73:74], v[91:92] offset1:32
	ds_store_2addr_b64 v165, v[93:94], v[95:96] offset0:64 offset1:96
	ds_store_2addr_b64 v165, v[97:98], v[99:100] offset0:128 offset1:160
	ds_store_b64 v165, v[101:102] offset:1536
	global_wb scope:SCOPE_SE
	s_wait_dscnt 0x0
	s_barrier_signal -1
	s_barrier_wait -1
	global_inv scope:SCOPE_SE
	ds_load_2addr_b64 v[4:7], v1 offset1:224
	ds_load_2addr_b64 v[8:11], v71 offset1:224
	;; [unrolled: 1-line block ×10, first 2 shown]
	ds_load_b64 v[101:102], v153 offset:35840
	global_wb scope:SCOPE_SE
	s_wait_dscnt 0x0
	s_barrier_signal -1
	s_barrier_wait -1
	global_inv scope:SCOPE_SE
	v_dual_mul_f32 v103, v37, v7 :: v_dual_mul_f32 v104, v39, v9
	v_mul_f32_e32 v106, v33, v15
	v_mul_f32_e32 v107, v33, v14
	s_delay_alu instid0(VALU_DEP_3) | instskip(SKIP_4) | instid1(VALU_DEP_4)
	v_fmac_f32_e32 v103, v36, v6
	v_mul_f32_e32 v6, v37, v6
	v_fmac_f32_e32 v104, v38, v8
	v_fmac_f32_e32 v106, v32, v14
	v_mul_f32_e32 v14, v35, v73
	v_fma_f32 v6, v36, v7, -v6
	v_mul_f32_e32 v105, v39, v8
	v_fma_f32 v8, v32, v15, -v107
	;; [unrolled: 2-line block ×3, first 2 shown]
	s_delay_alu instid0(VALU_DEP_4) | instskip(SKIP_4) | instid1(VALU_DEP_4)
	v_fma_f32 v7, v38, v9, -v105
	v_mul_f32_e32 v9, v35, v74
	v_mul_f32_e32 v105, v29, v83
	v_fmac_f32_e32 v107, v30, v85
	v_dual_mul_f32 v15, v29, v84 :: v_dual_mul_f32 v74, v31, v85
	v_fmac_f32_e32 v9, v34, v73
	s_delay_alu instid0(VALU_DEP_4) | instskip(SKIP_1) | instid1(VALU_DEP_4)
	v_fma_f32 v73, v28, v84, -v105
	v_mul_f32_e32 v84, v39, v11
	v_fmac_f32_e32 v15, v28, v83
	v_mul_f32_e32 v83, v37, v90
	v_mul_f32_e32 v37, v37, v89
	;; [unrolled: 1-line block ×3, first 2 shown]
	v_fmac_f32_e32 v84, v38, v10
	v_mul_f32_e32 v10, v33, v93
	v_fmac_f32_e32 v83, v36, v89
	v_fma_f32 v36, v36, v90, -v37
	v_fma_f32 v37, v38, v11, -v39
	v_dual_mul_f32 v38, v33, v94 :: v_dual_mul_f32 v33, v35, v76
	v_mul_f32_e32 v11, v35, v75
	v_mul_f32_e32 v35, v29, v98
	s_delay_alu instid0(VALU_DEP_3)
	v_dual_mul_f32 v39, v25, v92 :: v_dual_fmac_f32 v38, v32, v93
	v_fma_f32 v32, v32, v94, -v10
	v_dual_mul_f32 v10, v29, v97 :: v_dual_fmac_f32 v33, v34, v75
	v_fma_f32 v34, v34, v76, -v11
	v_fmac_f32_e32 v35, v28, v97
	v_mul_f32_e32 v29, v31, v88
	s_delay_alu instid0(VALU_DEP_4) | instskip(SKIP_4) | instid1(VALU_DEP_4)
	v_fma_f32 v28, v28, v98, -v10
	v_mul_f32_e32 v76, v27, v13
	v_mul_f32_e32 v10, v27, v12
	;; [unrolled: 1-line block ×3, first 2 shown]
	v_fmac_f32_e32 v29, v30, v87
	v_dual_mul_f32 v89, v19, v102 :: v_dual_fmac_f32 v76, v26, v12
	s_delay_alu instid0(VALU_DEP_4)
	v_fma_f32 v87, v26, v13, -v10
	v_mul_f32_e32 v10, v23, v81
	v_mul_f32_e32 v12, v19, v101
	v_fma_f32 v74, v30, v86, -v74
	v_mul_f32_e32 v25, v25, v91
	v_fma_f32 v30, v30, v88, -v11
	v_fmac_f32_e32 v39, v24, v91
	v_dual_mul_f32 v11, v21, v95 :: v_dual_mul_f32 v86, v23, v82
	v_fma_f32 v82, v22, v82, -v10
	v_fmac_f32_e32 v89, v18, v101
	v_fma_f32 v91, v18, v102, -v12
	v_add_f32_e32 v13, v104, v15
	v_add_f32_e32 v18, v8, v14
	v_dual_add_f32 v10, v103, v107 :: v_dual_mul_f32 v85, v21, v96
	v_fma_f32 v88, v20, v96, -v11
	v_dual_fmac_f32 v86, v22, v81 :: v_dual_mul_f32 v81, v17, v100
	v_mul_f32_e32 v11, v17, v99
	v_dual_sub_f32 v12, v103, v107 :: v_dual_add_f32 v17, v106, v9
	v_dual_sub_f32 v9, v9, v106 :: v_dual_sub_f32 v8, v14, v8
	v_dual_add_f32 v14, v13, v10 :: v_dual_sub_f32 v15, v104, v15
	v_fma_f32 v75, v24, v92, -v25
	v_dual_fmac_f32 v85, v20, v95 :: v_dual_sub_f32 v20, v13, v10
	v_sub_f32_e32 v10, v10, v17
	v_sub_f32_e32 v13, v17, v13
	v_add_f32_e32 v22, v9, v15
	v_dual_sub_f32 v24, v9, v15 :: v_dual_sub_f32 v9, v12, v9
	s_delay_alu instid0(VALU_DEP_4) | instskip(NEXT) | instid1(VALU_DEP_3)
	v_dual_sub_f32 v15, v15, v12 :: v_dual_mul_f32 v10, 0x3f4a47b2, v10
	v_add_f32_e32 v12, v22, v12
	v_mul_f32_e32 v22, 0x3d64c772, v13
	s_delay_alu instid0(VALU_DEP_4) | instskip(NEXT) | instid1(VALU_DEP_4)
	v_dual_mul_f32 v24, 0x3f08b237, v24 :: v_dual_fmac_f32 v81, v16, v99
	v_fmamk_f32 v13, v13, 0x3d64c772, v10
	v_fma_f32 v10, 0xbf3bfb3b, v20, -v10
	s_delay_alu instid0(VALU_DEP_4) | instskip(NEXT) | instid1(VALU_DEP_4)
	v_fma_f32 v22, 0x3f3bfb3b, v20, -v22
	v_fmamk_f32 v20, v9, 0xbeae86e6, v24
	v_add_f32_e32 v14, v17, v14
	v_mul_f32_e32 v26, 0xbf5ff5aa, v15
	v_fma_f32 v15, 0xbf5ff5aa, v15, -v24
	v_sub_f32_e32 v31, v34, v32
	v_fmac_f32_e32 v20, 0xbee1c552, v12
	v_fma_f32 v90, v16, v100, -v11
	v_dual_add_f32 v11, v6, v74 :: v_dual_add_f32 v16, v7, v73
	v_dual_sub_f32 v6, v6, v74 :: v_dual_sub_f32 v7, v7, v73
	v_fma_f32 v24, 0x3eae86e6, v9, -v26
	v_fmac_f32_e32 v15, 0xbee1c552, v12
	s_delay_alu instid0(VALU_DEP_4) | instskip(SKIP_2) | instid1(VALU_DEP_3)
	v_add_f32_e32 v19, v16, v11
	v_sub_f32_e32 v21, v16, v11
	v_dual_sub_f32 v11, v11, v18 :: v_dual_sub_f32 v16, v18, v16
	v_dual_fmac_f32 v24, 0xbee1c552, v12 :: v_dual_add_f32 v17, v18, v19
	v_dual_sub_f32 v18, v7, v6 :: v_dual_add_f32 v23, v8, v7
	v_dual_sub_f32 v25, v8, v7 :: v_dual_sub_f32 v8, v6, v8
	s_delay_alu instid0(VALU_DEP_3) | instskip(SKIP_1) | instid1(VALU_DEP_4)
	v_add_f32_e32 v7, v78, v17
	v_mul_f32_e32 v11, 0x3f4a47b2, v11
	v_add_f32_e32 v19, v23, v6
	v_dual_add_f32 v6, v77, v14 :: v_dual_mul_f32 v23, 0x3d64c772, v16
	v_mul_f32_e32 v25, 0x3f08b237, v25
	v_mul_f32_e32 v27, 0xbf5ff5aa, v18
	s_delay_alu instid0(VALU_DEP_3)
	v_dual_fmamk_f32 v17, v17, 0xbf955555, v7 :: v_dual_fmamk_f32 v14, v14, 0xbf955555, v6
	v_fmamk_f32 v16, v16, 0x3d64c772, v11
	v_fma_f32 v23, 0x3f3bfb3b, v21, -v23
	v_fma_f32 v11, 0xbf3bfb3b, v21, -v11
	v_fmamk_f32 v21, v8, 0xbeae86e6, v25
	v_fma_f32 v18, 0xbf5ff5aa, v18, -v25
	v_fma_f32 v25, 0x3eae86e6, v8, -v27
	v_dual_add_f32 v26, v13, v14 :: v_dual_add_f32 v27, v16, v17
	v_add_f32_e32 v16, v22, v14
	v_dual_add_f32 v22, v23, v17 :: v_dual_add_f32 v23, v10, v14
	v_fmac_f32_e32 v21, 0xbee1c552, v19
	v_fmac_f32_e32 v25, 0xbee1c552, v19
	v_dual_fmac_f32 v18, 0xbee1c552, v19 :: v_dual_sub_f32 v9, v27, v20
	s_delay_alu instid0(VALU_DEP_3) | instskip(NEXT) | instid1(VALU_DEP_3)
	v_dual_add_f32 v19, v20, v27 :: v_dual_add_f32 v8, v21, v26
	v_add_f32_e32 v10, v25, v23
	s_delay_alu instid0(VALU_DEP_3)
	v_sub_f32_e32 v12, v16, v18
	v_add_f32_e32 v14, v18, v16
	v_sub_f32_e32 v16, v23, v25
	v_dual_sub_f32 v18, v26, v21 :: v_dual_add_f32 v21, v36, v30
	v_sub_f32_e32 v23, v36, v30
	v_sub_f32_e32 v26, v84, v35
	;; [unrolled: 1-line block ×3, first 2 shown]
	v_add_f32_e32 v25, v37, v28
	v_dual_sub_f32 v27, v37, v28 :: v_dual_add_f32 v28, v38, v33
	v_add_f32_e32 v20, v83, v29
	s_delay_alu instid0(VALU_DEP_4) | instskip(SKIP_2) | instid1(VALU_DEP_3)
	v_dual_sub_f32 v38, v30, v26 :: v_dual_add_f32 v17, v11, v17
	v_add_f32_e32 v13, v15, v22
	v_dual_sub_f32 v15, v22, v15 :: v_dual_sub_f32 v22, v83, v29
	v_dual_mul_f32 v38, 0x3f08b237, v38 :: v_dual_sub_f32 v11, v17, v24
	v_add_f32_e32 v17, v24, v17
	v_add_f32_e32 v24, v84, v35
	;; [unrolled: 1-line block ×4, first 2 shown]
	v_dual_sub_f32 v35, v25, v21 :: v_dual_sub_f32 v36, v20, v28
	s_delay_alu instid0(VALU_DEP_4) | instskip(NEXT) | instid1(VALU_DEP_4)
	v_add_f32_e32 v32, v24, v20
	v_dual_sub_f32 v34, v24, v20 :: v_dual_sub_f32 v37, v21, v29
	v_dual_sub_f32 v24, v28, v24 :: v_dual_sub_f32 v25, v29, v25
	v_dual_add_f32 v20, v30, v26 :: v_dual_add_f32 v21, v31, v27
	v_dual_sub_f32 v73, v31, v27 :: v_dual_sub_f32 v26, v26, v22
	v_dual_add_f32 v28, v28, v32 :: v_dual_add_f32 v29, v29, v33
	v_dual_sub_f32 v30, v22, v30 :: v_dual_sub_f32 v31, v23, v31
	s_delay_alu instid0(VALU_DEP_4) | instskip(NEXT) | instid1(VALU_DEP_3)
	v_dual_sub_f32 v27, v27, v23 :: v_dual_add_f32 v22, v20, v22
	v_dual_add_f32 v23, v21, v23 :: v_dual_add_f32 v20, v79, v28
	s_delay_alu instid0(VALU_DEP_4)
	v_dual_add_f32 v21, v80, v29 :: v_dual_mul_f32 v32, 0x3f4a47b2, v36
	v_mul_f32_e32 v33, 0x3f4a47b2, v37
	v_dual_mul_f32 v36, 0x3d64c772, v24 :: v_dual_mul_f32 v37, 0x3d64c772, v25
	v_mul_f32_e32 v73, 0x3f08b237, v73
	v_dual_mul_f32 v74, 0xbf5ff5aa, v26 :: v_dual_mul_f32 v77, 0xbf5ff5aa, v27
	v_dual_fmamk_f32 v28, v28, 0xbf955555, v20 :: v_dual_fmamk_f32 v29, v29, 0xbf955555, v21
	v_dual_fmamk_f32 v24, v24, 0x3d64c772, v32 :: v_dual_fmamk_f32 v25, v25, 0x3d64c772, v33
	v_fma_f32 v36, 0x3f3bfb3b, v34, -v36
	v_fma_f32 v37, 0x3f3bfb3b, v35, -v37
	v_fma_f32 v32, 0xbf3bfb3b, v34, -v32
	v_fma_f32 v33, 0xbf3bfb3b, v35, -v33
	v_dual_fmamk_f32 v34, v30, 0xbeae86e6, v38 :: v_dual_fmamk_f32 v35, v31, 0xbeae86e6, v73
	v_fma_f32 v73, 0xbf5ff5aa, v27, -v73
	v_fma_f32 v74, 0x3eae86e6, v30, -v74
	;; [unrolled: 1-line block ×4, first 2 shown]
	v_dual_add_f32 v78, v25, v29 :: v_dual_add_f32 v31, v36, v28
	v_dual_add_f32 v33, v33, v29 :: v_dual_fmac_f32 v34, 0xbee1c552, v22
	v_dual_fmac_f32 v74, 0xbee1c552, v22 :: v_dual_fmac_f32 v73, 0xbee1c552, v23
	v_dual_add_f32 v77, v24, v28 :: v_dual_add_f32 v36, v37, v29
	v_dual_add_f32 v32, v32, v28 :: v_dual_fmac_f32 v35, 0xbee1c552, v23
	v_fmac_f32_e32 v38, 0xbee1c552, v22
	v_dual_fmac_f32 v30, 0xbee1c552, v23 :: v_dual_sub_f32 v23, v78, v34
	v_dual_sub_f32 v25, v33, v74 :: v_dual_sub_f32 v26, v31, v73
	v_dual_add_f32 v28, v73, v31 :: v_dual_add_f32 v31, v74, v33
	v_add_f32_e32 v33, v34, v78
	v_sub_f32_e32 v37, v75, v91
	v_sub_f32_e32 v74, v87, v90
	;; [unrolled: 1-line block ×3, first 2 shown]
	v_add_f32_e32 v22, v35, v77
	v_dual_add_f32 v24, v30, v32 :: v_dual_sub_f32 v29, v36, v38
	v_sub_f32_e32 v30, v32, v30
	v_sub_f32_e32 v32, v77, v35
	v_add_f32_e32 v34, v39, v89
	v_add_f32_e32 v35, v75, v91
	;; [unrolled: 1-line block ×3, first 2 shown]
	v_sub_f32_e32 v77, v86, v85
	v_add_f32_e32 v84, v78, v74
	v_sub_f32_e32 v86, v78, v74
	v_sub_f32_e32 v74, v74, v37
	v_dual_add_f32 v27, v38, v36 :: v_dual_sub_f32 v36, v39, v89
	v_dual_add_f32 v39, v87, v90 :: v_dual_add_f32 v38, v76, v81
	v_sub_f32_e32 v73, v76, v81
	v_add_f32_e32 v76, v88, v82
	v_sub_f32_e32 v78, v37, v78
	s_delay_alu instid0(VALU_DEP_4) | instskip(SKIP_1) | instid1(VALU_DEP_4)
	v_dual_add_f32 v80, v39, v35 :: v_dual_add_f32 v79, v38, v34
	v_dual_sub_f32 v81, v38, v34 :: v_dual_sub_f32 v82, v39, v35
	v_dual_sub_f32 v34, v34, v75 :: v_dual_sub_f32 v35, v35, v76
	v_sub_f32_e32 v39, v76, v39
	s_delay_alu instid0(VALU_DEP_4) | instskip(SKIP_1) | instid1(VALU_DEP_4)
	v_add_f32_e32 v76, v76, v80
	v_sub_f32_e32 v38, v75, v38
	v_dual_mul_f32 v34, 0x3f4a47b2, v34 :: v_dual_add_f32 v75, v75, v79
	v_add_f32_e32 v37, v84, v37
	s_delay_alu instid0(VALU_DEP_4) | instskip(NEXT) | instid1(VALU_DEP_3)
	v_add_f32_e32 v5, v5, v76
	v_dual_mul_f32 v79, 0x3d64c772, v38 :: v_dual_fmamk_f32 v38, v38, 0x3d64c772, v34
	s_delay_alu instid0(VALU_DEP_4) | instskip(SKIP_1) | instid1(VALU_DEP_4)
	v_add_f32_e32 v4, v4, v75
	v_mul_f32_e32 v35, 0x3f4a47b2, v35
	v_fmamk_f32 v76, v76, 0xbf955555, v5
	ds_store_2addr_b64 v153, v[6:7], v[8:9] offset1:224
	ds_store_2addr_b64 v1, v[10:11], v[12:13] offset1:224
	;; [unrolled: 1-line block ×5, first 2 shown]
	v_dual_add_f32 v83, v77, v73 :: v_dual_add_nc_u32 v8, 0x7e00, v168
	v_sub_f32_e32 v85, v77, v73
	v_sub_f32_e32 v73, v73, v36
	v_dual_sub_f32 v77, v36, v77 :: v_dual_mul_f32 v80, 0x3d64c772, v39
	s_delay_alu instid0(VALU_DEP_3) | instskip(SKIP_1) | instid1(VALU_DEP_4)
	v_dual_add_f32 v36, v83, v36 :: v_dual_mul_f32 v83, 0x3f08b237, v85
	v_mul_f32_e32 v84, 0x3f08b237, v86
	v_dual_mul_f32 v85, 0xbf5ff5aa, v73 :: v_dual_mul_f32 v86, 0xbf5ff5aa, v74
	v_fmamk_f32 v75, v75, 0xbf955555, v4
	v_fmamk_f32 v39, v39, 0x3d64c772, v35
	v_fma_f32 v79, 0x3f3bfb3b, v81, -v79
	v_fma_f32 v80, 0x3f3bfb3b, v82, -v80
	;; [unrolled: 1-line block ×4, first 2 shown]
	v_dual_fmamk_f32 v81, v77, 0xbeae86e6, v83 :: v_dual_fmamk_f32 v82, v78, 0xbeae86e6, v84
	v_fma_f32 v83, 0xbf5ff5aa, v73, -v83
	v_fma_f32 v73, 0xbf5ff5aa, v74, -v84
	v_fma_f32 v77, 0x3eae86e6, v77, -v85
	v_fma_f32 v78, 0x3eae86e6, v78, -v86
	v_dual_add_f32 v84, v38, v75 :: v_dual_add_f32 v85, v39, v76
	v_dual_fmac_f32 v81, 0xbee1c552, v36 :: v_dual_fmac_f32 v82, 0xbee1c552, v37
	v_dual_add_f32 v74, v79, v75 :: v_dual_add_f32 v79, v80, v76
	v_dual_add_f32 v75, v34, v75 :: v_dual_add_f32 v76, v35, v76
	v_dual_fmac_f32 v83, 0xbee1c552, v36 :: v_dual_fmac_f32 v78, 0xbee1c552, v37
	v_fmac_f32_e32 v77, 0xbee1c552, v36
	v_dual_fmac_f32 v73, 0xbee1c552, v37 :: v_dual_add_f32 v34, v82, v84
	v_dual_sub_f32 v35, v85, v81 :: v_dual_add_nc_u32 v6, 0x6200, v168
	s_delay_alu instid0(VALU_DEP_3) | instskip(NEXT) | instid1(VALU_DEP_3)
	v_dual_add_f32 v36, v78, v75 :: v_dual_sub_f32 v37, v76, v77
	v_dual_sub_f32 v38, v74, v73 :: v_dual_add_f32 v39, v83, v79
	v_add_nc_u32_e32 v7, 0x7000, v168
	v_dual_add_f32 v73, v73, v74 :: v_dual_sub_f32 v74, v79, v83
	v_dual_sub_f32 v75, v75, v78 :: v_dual_add_f32 v76, v77, v76
	v_dual_sub_f32 v77, v84, v82 :: v_dual_add_f32 v78, v81, v85
	ds_store_2addr_b64 v69, v[26:27], v[28:29] offset1:224
	ds_store_2addr_b64 v0, v[30:31], v[32:33] offset1:224
	;; [unrolled: 1-line block ×5, first 2 shown]
	ds_store_b64 v168, v[77:78] offset:35840
	global_wb scope:SCOPE_SE
	s_wait_dscnt 0x0
	s_barrier_signal -1
	s_barrier_wait -1
	global_inv scope:SCOPE_SE
	ds_load_2addr_b64 v[4:7], v71 offset1:224
	ds_load_2addr_b64 v[8:11], v72 offset1:224
	;; [unrolled: 1-line block ×10, first 2 shown]
	ds_load_b64 v[75:76], v153 offset:35840
	s_wait_dscnt 0xa
	v_mul_f32_e32 v77, v65, v7
	s_wait_dscnt 0x9
	v_dual_mul_f32 v65, v65, v6 :: v_dual_mul_f32 v78, v67, v9
	s_delay_alu instid0(VALU_DEP_1) | instskip(NEXT) | instid1(VALU_DEP_3)
	v_fma_f32 v7, v64, v7, -v65
	v_dual_fmac_f32 v77, v64, v6 :: v_dual_mul_f32 v6, v67, v8
	s_wait_dscnt 0x8
	v_mul_f32_e32 v64, v61, v13
	v_fmac_f32_e32 v78, v66, v8
	v_mul_f32_e32 v8, v61, v12
	v_fma_f32 v9, v66, v9, -v6
	s_delay_alu instid0(VALU_DEP_4) | instskip(SKIP_1) | instid1(VALU_DEP_4)
	v_fmac_f32_e32 v64, v60, v12
	v_mul_f32_e32 v6, v63, v10
	v_fma_f32 v13, v60, v13, -v8
	v_mul_f32_e32 v60, v57, v15
	v_mul_f32_e32 v8, v57, v14
	v_sub_f32_e32 v12, v7, v9
	v_mul_f32_e32 v61, v63, v11
	v_fma_f32 v57, v62, v11, -v6
	v_fmac_f32_e32 v60, v56, v14
	s_wait_dscnt 0x5
	v_mul_f32_e32 v6, v59, v24
	v_fma_f32 v56, v56, v15, -v8
	v_dual_fmac_f32 v61, v62, v10 :: v_dual_mul_f32 v62, v59, v25
	s_wait_dscnt 0x4
	v_mul_f32_e32 v59, v53, v29
	v_mul_f32_e32 v8, v53, v28
	v_add_f32_e32 v14, v17, v7
	v_fma_f32 v25, v58, v25, -v6
	v_fmac_f32_e32 v62, v58, v24
	v_mul_f32_e32 v6, v55, v26
	v_add_f32_e32 v11, v7, v9
	v_add_f32_e32 v9, v14, v9
	v_add_f32_e32 v14, v18, v64
	v_fmac_f32_e32 v59, v52, v28
	v_fma_f32 v28, v52, v29, -v8
	v_mul_f32_e32 v52, v49, v31
	v_dual_mul_f32 v8, v49, v30 :: v_dual_mul_f32 v53, v55, v27
	v_fma_f32 v27, v54, v27, -v6
	s_wait_dscnt 0x2
	v_mul_f32_e32 v6, v51, v36
	v_fmac_f32_e32 v52, v48, v30
	v_fma_f32 v31, v48, v31, -v8
	s_wait_dscnt 0x1
	v_mul_f32_e32 v48, v45, v72
	v_dual_mul_f32 v8, v45, v71 :: v_dual_mul_f32 v49, v51, v37
	v_fma_f32 v37, v50, v37, -v6
	v_dual_mul_f32 v45, v47, v39 :: v_dual_add_f32 v24, v20, v60
	s_delay_alu instid0(VALU_DEP_4) | instskip(SKIP_2) | instid1(VALU_DEP_4)
	v_fmac_f32_e32 v48, v44, v71
	v_mul_f32_e32 v6, v47, v38
	v_fma_f32 v44, v44, v72, -v8
	v_dual_mul_f32 v8, v41, v73 :: v_dual_fmac_f32 v45, v46, v38
	v_fmac_f32_e32 v49, v50, v36
	s_delay_alu instid0(VALU_DEP_4)
	v_fma_f32 v39, v46, v39, -v6
	s_wait_dscnt 0x0
	v_mul_f32_e32 v46, v43, v76
	v_mul_f32_e32 v6, v43, v75
	v_fma_f32 v43, v40, v74, -v8
	v_add_f32_e32 v8, v77, v78
	v_dual_add_f32 v10, v16, v77 :: v_dual_sub_f32 v15, v77, v78
	s_delay_alu instid0(VALU_DEP_4) | instskip(SKIP_1) | instid1(VALU_DEP_4)
	v_fma_f32 v50, v42, v76, -v6
	v_mul_f32_e32 v47, v41, v74
	v_fma_f32 v6, -0.5, v8, v16
	s_delay_alu instid0(VALU_DEP_4) | instskip(SKIP_2) | instid1(VALU_DEP_4)
	v_add_f32_e32 v8, v10, v78
	v_sub_f32_e32 v16, v13, v57
	v_dual_sub_f32 v36, v28, v27 :: v_dual_sub_f32 v41, v31, v37
	v_fmamk_f32 v10, v12, 0xbf5db3d7, v6
	v_fmac_f32_e32 v6, 0x3f5db3d7, v12
	v_dual_add_f32 v12, v64, v61 :: v_dual_add_f32 v29, v21, v56
	v_sub_f32_e32 v30, v60, v62
	v_add_f32_e32 v38, v32, v52
	v_fmac_f32_e32 v46, v42, v75
	s_delay_alu instid0(VALU_DEP_4)
	v_fma_f32 v18, -0.5, v12, v18
	v_fmac_f32_e32 v53, v54, v26
	v_add_f32_e32 v12, v14, v61
	v_sub_f32_e32 v26, v56, v25
	v_sub_f32_e32 v42, v44, v39
	v_fmamk_f32 v14, v16, 0xbf5db3d7, v18
	v_fmac_f32_e32 v18, 0x3f5db3d7, v16
	v_add_f32_e32 v16, v60, v62
	s_delay_alu instid0(VALU_DEP_1) | instskip(SKIP_3) | instid1(VALU_DEP_4)
	v_fma_f32 v16, -0.5, v16, v20
	v_add_f32_e32 v20, v24, v62
	v_fma_f32 v7, -0.5, v11, v17
	v_sub_f32_e32 v17, v64, v61
	v_dual_fmac_f32 v47, v40, v73 :: v_dual_fmamk_f32 v24, v26, 0xbf5db3d7, v16
	s_delay_alu instid0(VALU_DEP_3) | instskip(SKIP_4) | instid1(VALU_DEP_3)
	v_dual_fmac_f32 v16, 0x3f5db3d7, v26 :: v_dual_fmamk_f32 v11, v15, 0x3f5db3d7, v7
	v_fmac_f32_e32 v7, 0xbf5db3d7, v15
	v_add_f32_e32 v15, v13, v57
	v_add_f32_e32 v13, v19, v13
	;; [unrolled: 1-line block ×3, first 2 shown]
	v_dual_add_f32 v40, v31, v37 :: v_dual_fmac_f32 v19, -0.5, v15
	s_delay_alu instid0(VALU_DEP_1) | instskip(SKIP_2) | instid1(VALU_DEP_1)
	v_fmamk_f32 v15, v17, 0x3f5db3d7, v19
	v_fmac_f32_e32 v19, 0xbf5db3d7, v17
	v_add_f32_e32 v17, v56, v25
	v_fma_f32 v17, -0.5, v17, v21
	v_add_f32_e32 v21, v29, v25
	v_add_f32_e32 v29, v22, v59
	v_fma_f32 v22, -0.5, v26, v22
	s_delay_alu instid0(VALU_DEP_4) | instskip(SKIP_1) | instid1(VALU_DEP_4)
	v_fmamk_f32 v25, v30, 0x3f5db3d7, v17
	v_dual_fmac_f32 v17, 0xbf5db3d7, v30 :: v_dual_add_f32 v30, v28, v27
	v_dual_add_f32 v26, v29, v53 :: v_dual_add_f32 v29, v23, v28
	s_delay_alu instid0(VALU_DEP_4) | instskip(NEXT) | instid1(VALU_DEP_3)
	v_dual_fmamk_f32 v28, v36, 0xbf5db3d7, v22 :: v_dual_add_f32 v13, v13, v57
	v_dual_fmac_f32 v23, -0.5, v30 :: v_dual_sub_f32 v30, v59, v53
	v_fmac_f32_e32 v22, 0x3f5db3d7, v36
	s_delay_alu instid0(VALU_DEP_4) | instskip(NEXT) | instid1(VALU_DEP_3)
	v_dual_add_f32 v36, v52, v49 :: v_dual_add_f32 v27, v29, v27
	v_fmamk_f32 v29, v30, 0x3f5db3d7, v23
	v_fmac_f32_e32 v23, 0xbf5db3d7, v30
	s_delay_alu instid0(VALU_DEP_3)
	v_fma_f32 v30, -0.5, v36, v32
	v_add_f32_e32 v32, v38, v49
	v_add_f32_e32 v38, v33, v31
	v_fma_f32 v31, -0.5, v40, v33
	v_sub_f32_e32 v40, v52, v49
	v_fmamk_f32 v36, v41, 0xbf5db3d7, v30
	v_fmac_f32_e32 v30, 0x3f5db3d7, v41
	v_add_f32_e32 v33, v38, v37
	v_add_f32_e32 v38, v48, v45
	v_fmamk_f32 v37, v40, 0x3f5db3d7, v31
	v_add_f32_e32 v41, v34, v48
	v_dual_fmac_f32 v31, 0xbf5db3d7, v40 :: v_dual_add_f32 v40, v44, v39
	s_delay_alu instid0(VALU_DEP_4) | instskip(NEXT) | instid1(VALU_DEP_3)
	v_fma_f32 v34, -0.5, v38, v34
	v_dual_add_f32 v38, v41, v45 :: v_dual_add_f32 v41, v35, v44
	s_delay_alu instid0(VALU_DEP_3) | instskip(NEXT) | instid1(VALU_DEP_3)
	v_dual_fmac_f32 v35, -0.5, v40 :: v_dual_sub_f32 v44, v48, v45
	v_fmamk_f32 v40, v42, 0xbf5db3d7, v34
	v_fmac_f32_e32 v34, 0x3f5db3d7, v42
	v_dual_add_f32 v42, v47, v46 :: v_dual_add_f32 v45, v4, v47
	v_sub_f32_e32 v48, v43, v50
	v_sub_f32_e32 v47, v47, v46
	s_delay_alu instid0(VALU_DEP_3) | instskip(SKIP_4) | instid1(VALU_DEP_2)
	v_fma_f32 v4, -0.5, v42, v4
	v_add_f32_e32 v39, v41, v39
	v_fmamk_f32 v41, v44, 0x3f5db3d7, v35
	v_dual_fmac_f32 v35, 0xbf5db3d7, v44 :: v_dual_add_f32 v44, v43, v50
	v_add_f32_e32 v43, v5, v43
	v_dual_add_f32 v42, v45, v46 :: v_dual_fmac_f32 v5, -0.5, v44
	v_fmamk_f32 v44, v48, 0xbf5db3d7, v4
	s_delay_alu instid0(VALU_DEP_3) | instskip(NEXT) | instid1(VALU_DEP_3)
	v_dual_fmac_f32 v4, 0x3f5db3d7, v48 :: v_dual_add_f32 v43, v43, v50
	v_fmamk_f32 v45, v47, 0x3f5db3d7, v5
	v_fmac_f32_e32 v5, 0xbf5db3d7, v47
	ds_store_b64 v153, v[10:11] offset:12544
	ds_store_b64 v153, v[6:7] offset:25088
	ds_store_2addr_b64 v153, v[8:9], v[12:13] offset1:224
	ds_store_b64 v153, v[18:19] offset:26880
	ds_store_2addr_b64 v68, v[14:15], v[24:25] offset1:224
	ds_store_2addr_b64 v1, v[20:21], v[26:27] offset1:224
	;; [unrolled: 1-line block ×6, first 2 shown]
	ds_store_b64 v153, v[42:43] offset:10752
	ds_store_2addr_b64 v0, v[40:41], v[44:45] offset1:224
	ds_store_b64 v153, v[4:5] offset:35840
	global_wb scope:SCOPE_SE
	s_wait_dscnt 0x0
	s_barrier_signal -1
	s_barrier_wait -1
	global_inv scope:SCOPE_SE
	ds_load_2addr_b64 v[0:3], v153 offset1:224
	v_add_nc_u32_e32 v8, 0x2400, v153
	v_add_nc_u32_e32 v12, 0x3700, v153
	s_wait_dscnt 0x0
	v_dual_mul_f32 v5, v142, v0 :: v_dual_add_nc_u32 v16, 0x4900, v153
	v_mul_f32_e32 v4, v142, v1
	s_delay_alu instid0(VALU_DEP_2) | instskip(NEXT) | instid1(VALU_DEP_2)
	v_fma_f32 v5, v141, v1, -v5
	v_fmac_f32_e32 v4, v141, v0
	s_delay_alu instid0(VALU_DEP_2) | instskip(NEXT) | instid1(VALU_DEP_2)
	v_cvt_f64_f32_e32 v[20:21], v5
	v_cvt_f64_f32_e32 v[0:1], v4
	v_add_nc_u32_e32 v4, 0x1200, v153
	ds_load_2addr_b64 v[4:7], v4 offset0:12 offset1:236
	ds_load_2addr_b64 v[8:11], v8 offset0:24 offset1:248
	;; [unrolled: 1-line block ×4, first 2 shown]
	s_wait_dscnt 0x3
	v_mul_f32_e32 v22, v138, v5
	s_wait_dscnt 0x2
	v_mul_f32_e32 v28, v134, v9
	v_mul_f32_e32 v23, v138, v4
	s_wait_dscnt 0x0
	v_dual_mul_f32 v47, v130, v18 :: v_dual_fmac_f32 v22, v137, v4
	s_delay_alu instid0(VALU_DEP_3) | instskip(SKIP_1) | instid1(VALU_DEP_3)
	v_fmac_f32_e32 v28, v133, v8
	v_mul_f32_e32 v8, v134, v8
	v_fma_f32 v47, v129, v19, -v47
	s_delay_alu instid0(VALU_DEP_3)
	v_cvt_f64_f32_e32 v[28:29], v28
	s_wait_alu 0xfffe
	v_mul_f64_e32 v[24:25], s[2:3], v[20:21]
	v_mul_f32_e32 v21, v140, v13
	v_fma_f32 v20, v137, v5, -v23
	v_mul_f64_e32 v[0:1], s[2:3], v[0:1]
	v_cvt_f64_f32_e32 v[4:5], v22
	v_mul_f32_e32 v22, v132, v16
	v_fmac_f32_e32 v21, v139, v12
	v_mul_f32_e32 v12, v140, v12
	v_cvt_f64_f32_e32 v[26:27], v20
	v_mul_f32_e32 v20, v132, v17
	v_fma_f32 v8, v133, v9, -v8
	v_cvt_f64_f32_e32 v[30:31], v21
	v_fma_f32 v21, v139, v13, -v12
	v_mad_co_u64_u32 v[12:13], null, s6, v112, 0
	v_fma_f32 v22, v131, v17, -v22
	v_cvt_f64_f32_e32 v[8:9], v8
	s_delay_alu instid0(VALU_DEP_2) | instskip(NEXT) | instid1(VALU_DEP_4)
	v_cvt_f64_f32_e32 v[34:35], v22
	v_mad_co_u64_u32 v[36:37], null, s7, v112, v[13:14]
	v_fmac_f32_e32 v20, v131, v16
	v_cvt_f64_f32_e32 v[16:17], v21
	v_mad_co_u64_u32 v[37:38], null, s4, v154, 0
	s_delay_alu instid0(VALU_DEP_4) | instskip(NEXT) | instid1(VALU_DEP_4)
	v_mov_b32_e32 v13, v36
	v_cvt_f64_f32_e32 v[32:33], v20
	v_add_nc_u32_e32 v20, 0x5b00, v153
	s_delay_alu instid0(VALU_DEP_4) | instskip(NEXT) | instid1(VALU_DEP_4)
	v_mov_b32_e32 v36, v38
	v_lshlrev_b64_e32 v[12:13], 3, v[12:13]
	ds_load_2addr_b64 v[20:23], v20 offset0:28 offset1:252
	v_mul_f64_e32 v[41:42], s[2:3], v[28:29]
	v_add_nc_u32_e32 v28, 0x8000, v153
	v_add_co_u32 v12, s0, s8, v12
	v_cvt_f32_f64_e32 v0, v[0:1]
	v_cvt_f32_f64_e32 v1, v[24:25]
	v_mad_co_u64_u32 v[24:25], null, s5, v154, v[36:37]
	v_mul_f64_e32 v[39:40], s[2:3], v[26:27]
	v_mul_f64_e32 v[4:5], s[2:3], v[4:5]
	s_wait_alu 0xf1ff
	v_add_co_ci_u32_e64 v13, s0, s9, v13, s0
	v_mul_f64_e32 v[43:44], s[2:3], v[30:31]
	v_mov_b32_e32 v38, v24
	v_mul_f64_e32 v[8:9], s[2:3], v[8:9]
	s_wait_dscnt 0x0
	v_mul_f32_e32 v25, v136, v21
	v_mul_f32_e32 v26, v136, v20
	v_mul_f32_e32 v48, v111, v23
	s_delay_alu instid0(VALU_DEP_3) | instskip(NEXT) | instid1(VALU_DEP_3)
	v_fmac_f32_e32 v25, v135, v20
	v_fma_f32 v26, v135, v21, -v26
	v_mul_f64_e32 v[16:17], s[2:3], v[16:17]
	s_delay_alu instid0(VALU_DEP_4) | instskip(SKIP_1) | instid1(VALU_DEP_4)
	v_fmac_f32_e32 v48, v110, v22
	v_mul_f32_e32 v22, v111, v22
	v_cvt_f64_f32_e32 v[45:46], v26
	v_mul_f64_e32 v[20:21], s[2:3], v[32:33]
	v_mul_f64_e32 v[32:33], s[2:3], v[34:35]
	v_cvt_f64_f32_e32 v[34:35], v25
	v_lshlrev_b64_e32 v[24:25], 3, v[37:38]
	v_add_nc_u32_e32 v26, 0x6e00, v153
	v_mul_f32_e32 v38, v118, v3
	v_fma_f32 v22, v110, v23, -v22
	v_cvt_f64_f32_e32 v[48:49], v48
	v_add_co_u32 v12, s0, v12, v24
	s_wait_alu 0xf1ff
	v_add_co_ci_u32_e64 v13, s0, v13, v25, s0
	ds_load_2addr_b64 v[24:27], v26 offset0:8 offset1:232
	ds_load_2addr_b64 v[28:31], v28 offset0:20 offset1:244
	s_mul_u64 s[0:1], s[4:5], 0x24c
	v_fmac_f32_e32 v38, v117, v2
	s_wait_alu 0xfffe
	s_lshl_b64 s[6:7], s[0:1], 3
	global_store_b64 v[12:13], v[0:1], off
	v_cvt_f32_f64_e32 v0, v[4:5]
	s_wait_alu 0xfffe
	v_add_co_u32 v4, s0, v12, s6
	s_wait_alu 0xf1ff
	v_add_co_ci_u32_e64 v5, s0, s7, v13, s0
	v_mul_f32_e32 v2, v118, v2
	v_cvt_f32_f64_e32 v13, v[8:9]
	v_cvt_f32_f64_e32 v1, v[39:40]
	v_cvt_f32_f64_e32 v12, v[41:42]
	v_cvt_f32_f64_e32 v8, v[43:44]
	v_mul_f32_e32 v40, v116, v7
	v_mul_f32_e32 v41, v116, v6
	;; [unrolled: 1-line block ×3, first 2 shown]
	v_fma_f32 v2, v117, v3, -v2
	v_cvt_f64_f32_e32 v[38:39], v38
	v_cvt_f32_f64_e32 v9, v[16:17]
	s_wait_dscnt 0x0
	v_mul_f32_e32 v36, v120, v29
	v_mul_f32_e32 v37, v120, v28
	;; [unrolled: 1-line block ×3, first 2 shown]
	v_fmac_f32_e32 v40, v115, v6
	v_cvt_f32_f64_e32 v16, v[20:21]
	v_dual_fmac_f32 v36, v119, v28 :: v_dual_mul_f32 v51, v128, v26
	v_mul_f64_e32 v[20:21], s[2:3], v[34:35]
	v_mul_f32_e32 v34, v122, v25
	v_mul_f32_e32 v35, v122, v24
	v_fma_f32 v37, v119, v29, -v37
	v_fma_f32 v41, v115, v7, -v41
	v_cvt_f64_f32_e32 v[2:3], v2
	v_fmac_f32_e32 v34, v121, v24
	v_fma_f32 v35, v121, v25, -v35
	v_fmac_f32_e32 v42, v123, v10
	v_fma_f32 v43, v123, v11, -v43
	v_cvt_f64_f32_e32 v[6:7], v40
	v_cvt_f64_f32_e32 v[24:25], v34
	;; [unrolled: 1-line block ×6, first 2 shown]
	v_cvt_f32_f64_e32 v17, v[32:33]
	v_mul_f64_e32 v[32:33], s[2:3], v[45:46]
	v_mul_f32_e32 v44, v114, v15
	v_mul_f32_e32 v45, v114, v14
	;; [unrolled: 1-line block ×3, first 2 shown]
	v_cvt_f64_f32_e32 v[40:41], v42
	v_cvt_f64_f32_e32 v[42:43], v43
	v_mul_f32_e32 v50, v128, v27
	v_mul_f32_e32 v52, v126, v31
	;; [unrolled: 1-line block ×3, first 2 shown]
	v_fmac_f32_e32 v44, v113, v14
	v_fma_f32 v45, v113, v15, -v45
	v_fmac_f32_e32 v46, v129, v18
	v_fmac_f32_e32 v50, v127, v26
	v_fma_f32 v51, v127, v27, -v51
	v_fmac_f32_e32 v52, v125, v30
	v_fma_f32 v53, v125, v31, -v53
	v_cvt_f64_f32_e32 v[14:15], v44
	v_cvt_f64_f32_e32 v[18:19], v45
	;; [unrolled: 1-line block ×9, first 2 shown]
	v_add_co_u32 v54, s0, v4, s6
	s_wait_alu 0xf1ff
	v_add_co_ci_u32_e64 v55, s0, s7, v5, s0
	global_store_b64 v[4:5], v[0:1], off
	v_add_co_u32 v56, s0, v54, s6
	v_mul_f64_e32 v[24:25], s[2:3], v[24:25]
	v_mul_f64_e32 v[28:29], s[2:3], v[28:29]
	s_wait_alu 0xf1ff
	v_add_co_ci_u32_e64 v57, s0, s7, v55, s0
	v_mul_f64_e32 v[34:35], s[2:3], v[34:35]
	v_mul_f64_e32 v[36:37], s[2:3], v[36:37]
	;; [unrolled: 1-line block ×4, first 2 shown]
	v_add_co_u32 v0, s0, v56, s6
	s_wait_alu 0xf1ff
	v_add_co_ci_u32_e64 v1, s0, s7, v57, s0
	s_clause 0x1
	global_store_b64 v[54:55], v[12:13], off
	global_store_b64 v[56:57], v[8:9], off
	v_mul_f64_e32 v[6:7], s[2:3], v[6:7]
	v_mul_f64_e32 v[8:9], s[2:3], v[10:11]
	global_store_b64 v[0:1], v[16:17], off
	v_mul_f64_e32 v[12:13], s[2:3], v[40:41]
	v_mul_f64_e32 v[16:17], s[2:3], v[42:43]
	v_cvt_f32_f64_e32 v10, v[20:21]
	v_cvt_f32_f64_e32 v11, v[32:33]
	v_mul_f64_e32 v[38:39], s[2:3], v[48:49]
	v_mul_f64_e32 v[14:15], s[2:3], v[14:15]
	v_mul_f64_e32 v[18:19], s[2:3], v[18:19]
	v_mul_f64_e32 v[20:21], s[2:3], v[44:45]
	v_mul_f64_e32 v[32:33], s[2:3], v[46:47]
	v_mul_f64_e32 v[22:23], s[2:3], v[22:23]
	v_mul_f64_e32 v[26:27], s[2:3], v[26:27]
	v_mul_f64_e32 v[30:31], s[2:3], v[30:31]
	v_mul_f64_e32 v[40:41], s[2:3], v[50:51]
	v_mul_f64_e32 v[42:43], s[2:3], v[52:53]
	v_add_co_u32 v0, s0, v0, s6
	s_wait_alu 0xf1ff
	v_add_co_ci_u32_e64 v1, s0, s7, v1, s0
	v_cvt_f32_f64_e32 v24, v[24:25]
	v_cvt_f32_f64_e32 v25, v[28:29]
	v_add_co_u32 v28, s0, v0, s6
	s_wait_alu 0xf1ff
	v_add_co_ci_u32_e64 v29, s0, s7, v1, s0
	v_cvt_f32_f64_e32 v34, v[34:35]
	v_cvt_f32_f64_e32 v35, v[36:37]
	;; [unrolled: 1-line block ×4, first 2 shown]
	v_add_co_u32 v36, s0, v28, s6
	s_wait_alu 0xf1ff
	v_add_co_ci_u32_e64 v37, s0, s7, v29, s0
	v_cvt_f32_f64_e32 v2, v[6:7]
	v_cvt_f32_f64_e32 v3, v[8:9]
	s_movk_i32 s0, 0xf0cc
	s_mov_b32 s1, -1
	v_cvt_f32_f64_e32 v8, v[12:13]
	s_wait_alu 0xfffe
	s_mul_u64 s[0:1], s[4:5], s[0:1]
	v_cvt_f32_f64_e32 v9, v[16:17]
	s_wait_alu 0xfffe
	s_lshl_b64 s[4:5], s[0:1], 3
	v_cvt_f32_f64_e32 v12, v[14:15]
	s_wait_alu 0xfffe
	v_add_co_u32 v6, s0, v36, s4
	s_wait_alu 0xf1ff
	v_add_co_ci_u32_e64 v7, s0, s5, v37, s0
	v_cvt_f32_f64_e32 v13, v[18:19]
	v_cvt_f32_f64_e32 v14, v[20:21]
	;; [unrolled: 1-line block ×4, first 2 shown]
	v_add_co_u32 v22, s0, v6, s6
	v_cvt_f32_f64_e32 v16, v[38:39]
	v_cvt_f32_f64_e32 v18, v[26:27]
	;; [unrolled: 1-line block ×3, first 2 shown]
	s_wait_alu 0xf1ff
	v_add_co_ci_u32_e64 v23, s0, s7, v7, s0
	v_cvt_f32_f64_e32 v20, v[40:41]
	v_cvt_f32_f64_e32 v21, v[42:43]
	global_store_b64 v[0:1], v[10:11], off
	v_add_co_u32 v0, s0, v22, s6
	s_wait_alu 0xf1ff
	v_add_co_ci_u32_e64 v1, s0, s7, v23, s0
	global_store_b64 v[28:29], v[24:25], off
	v_add_co_u32 v10, s0, v0, s6
	s_wait_alu 0xf1ff
	v_add_co_ci_u32_e64 v11, s0, s7, v1, s0
	;; [unrolled: 4-line block ×6, first 2 shown]
	global_store_b64 v[10:11], v[12:13], off
	global_store_b64 v[24:25], v[14:15], off
	;; [unrolled: 1-line block ×5, first 2 shown]
	s_and_b32 exec_lo, exec_lo, vcc_lo
	s_cbranch_execz .LBB0_23
; %bb.22:
	global_load_b64 v[2:3], v[108:109], off offset:3584
	ds_load_b64 v[4:5], v153 offset:3584
	ds_load_b64 v[6:7], v153 offset:8288
	;; [unrolled: 1-line block ×4, first 2 shown]
	v_add_co_u32 v0, vcc_lo, v0, s4
	s_wait_alu 0xfffd
	v_add_co_ci_u32_e32 v1, vcc_lo, s5, v1, vcc_lo
	s_wait_loadcnt_dscnt 0x3
	v_mul_f32_e32 v12, v5, v3
	v_mul_f32_e32 v3, v4, v3
	s_delay_alu instid0(VALU_DEP_2) | instskip(NEXT) | instid1(VALU_DEP_2)
	v_fmac_f32_e32 v12, v4, v2
	v_fma_f32 v4, v2, v5, -v3
	s_delay_alu instid0(VALU_DEP_2) | instskip(NEXT) | instid1(VALU_DEP_2)
	v_cvt_f64_f32_e32 v[2:3], v12
	v_cvt_f64_f32_e32 v[4:5], v4
	s_delay_alu instid0(VALU_DEP_2) | instskip(NEXT) | instid1(VALU_DEP_2)
	v_mul_f64_e32 v[2:3], s[2:3], v[2:3]
	v_mul_f64_e32 v[4:5], s[2:3], v[4:5]
	s_delay_alu instid0(VALU_DEP_2) | instskip(NEXT) | instid1(VALU_DEP_2)
	v_cvt_f32_f64_e32 v2, v[2:3]
	v_cvt_f32_f64_e32 v3, v[4:5]
	global_store_b64 v[0:1], v[2:3], off
	global_load_b64 v[2:3], v[108:109], off offset:8288
	v_add_co_u32 v0, vcc_lo, v0, s6
	s_wait_alu 0xfffd
	v_add_co_ci_u32_e32 v1, vcc_lo, s7, v1, vcc_lo
	s_wait_loadcnt_dscnt 0x2
	v_mul_f32_e32 v4, v7, v3
	v_mul_f32_e32 v3, v6, v3
	s_delay_alu instid0(VALU_DEP_2) | instskip(NEXT) | instid1(VALU_DEP_2)
	v_fmac_f32_e32 v4, v6, v2
	v_fma_f32 v5, v2, v7, -v3
	s_delay_alu instid0(VALU_DEP_2) | instskip(NEXT) | instid1(VALU_DEP_2)
	v_cvt_f64_f32_e32 v[2:3], v4
	v_cvt_f64_f32_e32 v[4:5], v5
	s_delay_alu instid0(VALU_DEP_2) | instskip(NEXT) | instid1(VALU_DEP_2)
	v_mul_f64_e32 v[2:3], s[2:3], v[2:3]
	v_mul_f64_e32 v[4:5], s[2:3], v[4:5]
	s_delay_alu instid0(VALU_DEP_2) | instskip(NEXT) | instid1(VALU_DEP_2)
	v_cvt_f32_f64_e32 v2, v[2:3]
	v_cvt_f32_f64_e32 v3, v[4:5]
	global_store_b64 v[0:1], v[2:3], off
	global_load_b64 v[2:3], v[108:109], off offset:12992
	;; [unrolled: 20-line block ×3, first 2 shown]
	ds_load_b64 v[4:5], v153 offset:17696
	ds_load_b64 v[6:7], v153 offset:22400
	;; [unrolled: 1-line block ×4, first 2 shown]
	v_add_co_u32 v0, vcc_lo, v0, s6
	s_wait_alu 0xfffd
	v_add_co_ci_u32_e32 v1, vcc_lo, s7, v1, vcc_lo
	s_wait_loadcnt_dscnt 0x3
	v_mul_f32_e32 v14, v5, v3
	v_mul_f32_e32 v3, v4, v3
	s_delay_alu instid0(VALU_DEP_2) | instskip(NEXT) | instid1(VALU_DEP_2)
	v_fmac_f32_e32 v14, v4, v2
	v_fma_f32 v4, v2, v5, -v3
	s_delay_alu instid0(VALU_DEP_2) | instskip(NEXT) | instid1(VALU_DEP_2)
	v_cvt_f64_f32_e32 v[2:3], v14
	v_cvt_f64_f32_e32 v[4:5], v4
	s_delay_alu instid0(VALU_DEP_2) | instskip(NEXT) | instid1(VALU_DEP_2)
	v_mul_f64_e32 v[2:3], s[2:3], v[2:3]
	v_mul_f64_e32 v[4:5], s[2:3], v[4:5]
	s_delay_alu instid0(VALU_DEP_2) | instskip(NEXT) | instid1(VALU_DEP_2)
	v_cvt_f32_f64_e32 v2, v[2:3]
	v_cvt_f32_f64_e32 v3, v[4:5]
	global_store_b64 v[0:1], v[2:3], off
	global_load_b64 v[2:3], v[108:109], off offset:22400
	v_add_co_u32 v0, vcc_lo, v0, s6
	s_wait_alu 0xfffd
	v_add_co_ci_u32_e32 v1, vcc_lo, s7, v1, vcc_lo
	s_wait_loadcnt_dscnt 0x2
	v_mul_f32_e32 v4, v7, v3
	v_mul_f32_e32 v3, v6, v3
	s_delay_alu instid0(VALU_DEP_2) | instskip(NEXT) | instid1(VALU_DEP_2)
	v_fmac_f32_e32 v4, v6, v2
	v_fma_f32 v5, v2, v7, -v3
	s_delay_alu instid0(VALU_DEP_2) | instskip(NEXT) | instid1(VALU_DEP_2)
	v_cvt_f64_f32_e32 v[2:3], v4
	v_cvt_f64_f32_e32 v[4:5], v5
	s_delay_alu instid0(VALU_DEP_2) | instskip(NEXT) | instid1(VALU_DEP_2)
	v_mul_f64_e32 v[2:3], s[2:3], v[2:3]
	v_mul_f64_e32 v[4:5], s[2:3], v[4:5]
	s_delay_alu instid0(VALU_DEP_2) | instskip(NEXT) | instid1(VALU_DEP_2)
	v_cvt_f32_f64_e32 v2, v[2:3]
	v_cvt_f32_f64_e32 v3, v[4:5]
	global_store_b64 v[0:1], v[2:3], off
	global_load_b64 v[2:3], v[108:109], off offset:27104
	;; [unrolled: 20-line block ×4, first 2 shown]
	v_add_co_u32 v0, vcc_lo, v0, s6
	s_wait_alu 0xfffd
	v_add_co_ci_u32_e32 v1, vcc_lo, s7, v1, vcc_lo
	s_wait_loadcnt 0x0
	v_mul_f32_e32 v4, v11, v3
	v_mul_f32_e32 v3, v10, v3
	s_delay_alu instid0(VALU_DEP_2) | instskip(NEXT) | instid1(VALU_DEP_2)
	v_fmac_f32_e32 v4, v10, v2
	v_fma_f32 v5, v2, v11, -v3
	s_delay_alu instid0(VALU_DEP_2) | instskip(NEXT) | instid1(VALU_DEP_2)
	v_cvt_f64_f32_e32 v[2:3], v4
	v_cvt_f64_f32_e32 v[4:5], v5
	s_delay_alu instid0(VALU_DEP_2) | instskip(NEXT) | instid1(VALU_DEP_2)
	v_mul_f64_e32 v[2:3], s[2:3], v[2:3]
	v_mul_f64_e32 v[4:5], s[2:3], v[4:5]
	s_delay_alu instid0(VALU_DEP_2) | instskip(NEXT) | instid1(VALU_DEP_2)
	v_cvt_f32_f64_e32 v2, v[2:3]
	v_cvt_f32_f64_e32 v3, v[4:5]
	global_store_b64 v[0:1], v[2:3], off
.LBB0_23:
	s_nop 0
	s_sendmsg sendmsg(MSG_DEALLOC_VGPRS)
	s_endpgm
	.section	.rodata,"a",@progbits
	.p2align	6, 0x0
	.amdhsa_kernel bluestein_single_back_len4704_dim1_sp_op_CI_CI
		.amdhsa_group_segment_fixed_size 37632
		.amdhsa_private_segment_fixed_size 0
		.amdhsa_kernarg_size 104
		.amdhsa_user_sgpr_count 2
		.amdhsa_user_sgpr_dispatch_ptr 0
		.amdhsa_user_sgpr_queue_ptr 0
		.amdhsa_user_sgpr_kernarg_segment_ptr 1
		.amdhsa_user_sgpr_dispatch_id 0
		.amdhsa_user_sgpr_private_segment_size 0
		.amdhsa_wavefront_size32 1
		.amdhsa_uses_dynamic_stack 0
		.amdhsa_enable_private_segment 0
		.amdhsa_system_sgpr_workgroup_id_x 1
		.amdhsa_system_sgpr_workgroup_id_y 0
		.amdhsa_system_sgpr_workgroup_id_z 0
		.amdhsa_system_sgpr_workgroup_info 0
		.amdhsa_system_vgpr_workitem_id 0
		.amdhsa_next_free_vgpr 215
		.amdhsa_next_free_sgpr 18
		.amdhsa_reserve_vcc 1
		.amdhsa_float_round_mode_32 0
		.amdhsa_float_round_mode_16_64 0
		.amdhsa_float_denorm_mode_32 3
		.amdhsa_float_denorm_mode_16_64 3
		.amdhsa_fp16_overflow 0
		.amdhsa_workgroup_processor_mode 1
		.amdhsa_memory_ordered 1
		.amdhsa_forward_progress 0
		.amdhsa_round_robin_scheduling 0
		.amdhsa_exception_fp_ieee_invalid_op 0
		.amdhsa_exception_fp_denorm_src 0
		.amdhsa_exception_fp_ieee_div_zero 0
		.amdhsa_exception_fp_ieee_overflow 0
		.amdhsa_exception_fp_ieee_underflow 0
		.amdhsa_exception_fp_ieee_inexact 0
		.amdhsa_exception_int_div_zero 0
	.end_amdhsa_kernel
	.text
.Lfunc_end0:
	.size	bluestein_single_back_len4704_dim1_sp_op_CI_CI, .Lfunc_end0-bluestein_single_back_len4704_dim1_sp_op_CI_CI
                                        ; -- End function
	.section	.AMDGPU.csdata,"",@progbits
; Kernel info:
; codeLenInByte = 22624
; NumSgprs: 20
; NumVgprs: 215
; ScratchSize: 0
; MemoryBound: 0
; FloatMode: 240
; IeeeMode: 1
; LDSByteSize: 37632 bytes/workgroup (compile time only)
; SGPRBlocks: 2
; VGPRBlocks: 26
; NumSGPRsForWavesPerEU: 20
; NumVGPRsForWavesPerEU: 215
; Occupancy: 6
; WaveLimiterHint : 1
; COMPUTE_PGM_RSRC2:SCRATCH_EN: 0
; COMPUTE_PGM_RSRC2:USER_SGPR: 2
; COMPUTE_PGM_RSRC2:TRAP_HANDLER: 0
; COMPUTE_PGM_RSRC2:TGID_X_EN: 1
; COMPUTE_PGM_RSRC2:TGID_Y_EN: 0
; COMPUTE_PGM_RSRC2:TGID_Z_EN: 0
; COMPUTE_PGM_RSRC2:TIDIG_COMP_CNT: 0
	.text
	.p2alignl 7, 3214868480
	.fill 96, 4, 3214868480
	.type	__hip_cuid_3b46cce4d7acf754,@object ; @__hip_cuid_3b46cce4d7acf754
	.section	.bss,"aw",@nobits
	.globl	__hip_cuid_3b46cce4d7acf754
__hip_cuid_3b46cce4d7acf754:
	.byte	0                               ; 0x0
	.size	__hip_cuid_3b46cce4d7acf754, 1

	.ident	"AMD clang version 19.0.0git (https://github.com/RadeonOpenCompute/llvm-project roc-6.4.0 25133 c7fe45cf4b819c5991fe208aaa96edf142730f1d)"
	.section	".note.GNU-stack","",@progbits
	.addrsig
	.addrsig_sym __hip_cuid_3b46cce4d7acf754
	.amdgpu_metadata
---
amdhsa.kernels:
  - .args:
      - .actual_access:  read_only
        .address_space:  global
        .offset:         0
        .size:           8
        .value_kind:     global_buffer
      - .actual_access:  read_only
        .address_space:  global
        .offset:         8
        .size:           8
        .value_kind:     global_buffer
      - .actual_access:  read_only
        .address_space:  global
        .offset:         16
        .size:           8
        .value_kind:     global_buffer
      - .actual_access:  read_only
        .address_space:  global
        .offset:         24
        .size:           8
        .value_kind:     global_buffer
      - .actual_access:  read_only
        .address_space:  global
        .offset:         32
        .size:           8
        .value_kind:     global_buffer
      - .offset:         40
        .size:           8
        .value_kind:     by_value
      - .address_space:  global
        .offset:         48
        .size:           8
        .value_kind:     global_buffer
      - .address_space:  global
        .offset:         56
        .size:           8
        .value_kind:     global_buffer
      - .address_space:  global
        .offset:         64
        .size:           8
        .value_kind:     global_buffer
      - .address_space:  global
        .offset:         72
        .size:           8
        .value_kind:     global_buffer
      - .offset:         80
        .size:           4
        .value_kind:     by_value
      - .address_space:  global
        .offset:         88
        .size:           8
        .value_kind:     global_buffer
      - .address_space:  global
        .offset:         96
        .size:           8
        .value_kind:     global_buffer
    .group_segment_fixed_size: 37632
    .kernarg_segment_align: 8
    .kernarg_segment_size: 104
    .language:       OpenCL C
    .language_version:
      - 2
      - 0
    .max_flat_workgroup_size: 224
    .name:           bluestein_single_back_len4704_dim1_sp_op_CI_CI
    .private_segment_fixed_size: 0
    .sgpr_count:     20
    .sgpr_spill_count: 0
    .symbol:         bluestein_single_back_len4704_dim1_sp_op_CI_CI.kd
    .uniform_work_group_size: 1
    .uses_dynamic_stack: false
    .vgpr_count:     215
    .vgpr_spill_count: 0
    .wavefront_size: 32
    .workgroup_processor_mode: 1
amdhsa.target:   amdgcn-amd-amdhsa--gfx1201
amdhsa.version:
  - 1
  - 2
...

	.end_amdgpu_metadata
